;; amdgpu-corpus repo=ROCm/composable_kernel kind=compiled arch=gfx1201 opt=O3
	.amdgcn_target "amdgcn-amd-amdhsa--gfx1201"
	.amdhsa_code_object_version 6
	.section	.text._ZN2ckL12flush_icacheEv,"axG",@progbits,_ZN2ckL12flush_icacheEv,comdat
	.globl	_ZN2ckL12flush_icacheEv         ; -- Begin function _ZN2ckL12flush_icacheEv
	.p2align	8
	.type	_ZN2ckL12flush_icacheEv,@function
_ZN2ckL12flush_icacheEv:                ; @_ZN2ckL12flush_icacheEv
; %bb.0:
	;;#ASMSTART
	s_icache_inv 
	s_nop 0 
	s_nop 0 
	;; [unrolled: 1-line block ×16, first 2 shown]
	
	;;#ASMEND
	s_endpgm
	.section	.rodata,"a",@progbits
	.p2align	6, 0x0
	.amdhsa_kernel _ZN2ckL12flush_icacheEv
		.amdhsa_group_segment_fixed_size 0
		.amdhsa_private_segment_fixed_size 0
		.amdhsa_kernarg_size 0
		.amdhsa_user_sgpr_count 0
		.amdhsa_user_sgpr_dispatch_ptr 0
		.amdhsa_user_sgpr_queue_ptr 0
		.amdhsa_user_sgpr_kernarg_segment_ptr 0
		.amdhsa_user_sgpr_dispatch_id 0
		.amdhsa_user_sgpr_private_segment_size 0
		.amdhsa_wavefront_size32 1
		.amdhsa_uses_dynamic_stack 0
		.amdhsa_enable_private_segment 0
		.amdhsa_system_sgpr_workgroup_id_x 1
		.amdhsa_system_sgpr_workgroup_id_y 0
		.amdhsa_system_sgpr_workgroup_id_z 0
		.amdhsa_system_sgpr_workgroup_info 0
		.amdhsa_system_vgpr_workitem_id 0
		.amdhsa_next_free_vgpr 1
		.amdhsa_next_free_sgpr 1
		.amdhsa_reserve_vcc 0
		.amdhsa_float_round_mode_32 0
		.amdhsa_float_round_mode_16_64 0
		.amdhsa_float_denorm_mode_32 3
		.amdhsa_float_denorm_mode_16_64 3
		.amdhsa_fp16_overflow 0
		.amdhsa_workgroup_processor_mode 1
		.amdhsa_memory_ordered 1
		.amdhsa_forward_progress 1
		.amdhsa_inst_pref_size 1
		.amdhsa_round_robin_scheduling 0
		.amdhsa_exception_fp_ieee_invalid_op 0
		.amdhsa_exception_fp_denorm_src 0
		.amdhsa_exception_fp_ieee_div_zero 0
		.amdhsa_exception_fp_ieee_overflow 0
		.amdhsa_exception_fp_ieee_underflow 0
		.amdhsa_exception_fp_ieee_inexact 0
		.amdhsa_exception_int_div_zero 0
	.end_amdhsa_kernel
	.section	.text._ZN2ckL12flush_icacheEv,"axG",@progbits,_ZN2ckL12flush_icacheEv,comdat
.Lfunc_end0:
	.size	_ZN2ckL12flush_icacheEv, .Lfunc_end0-_ZN2ckL12flush_icacheEv
                                        ; -- End function
	.set _ZN2ckL12flush_icacheEv.num_vgpr, 0
	.set _ZN2ckL12flush_icacheEv.num_agpr, 0
	.set _ZN2ckL12flush_icacheEv.numbered_sgpr, 0
	.set _ZN2ckL12flush_icacheEv.num_named_barrier, 0
	.set _ZN2ckL12flush_icacheEv.private_seg_size, 0
	.set _ZN2ckL12flush_icacheEv.uses_vcc, 0
	.set _ZN2ckL12flush_icacheEv.uses_flat_scratch, 0
	.set _ZN2ckL12flush_icacheEv.has_dyn_sized_stack, 0
	.set _ZN2ckL12flush_icacheEv.has_recursion, 0
	.set _ZN2ckL12flush_icacheEv.has_indirect_call, 0
	.section	.AMDGPU.csdata,"",@progbits
; Kernel info:
; codeLenInByte = 4
; TotalNumSgprs: 0
; NumVgprs: 0
; ScratchSize: 0
; MemoryBound: 0
; FloatMode: 240
; IeeeMode: 1
; LDSByteSize: 0 bytes/workgroup (compile time only)
; SGPRBlocks: 0
; VGPRBlocks: 0
; NumSGPRsForWavesPerEU: 1
; NumVGPRsForWavesPerEU: 1
; Occupancy: 16
; WaveLimiterHint : 0
; COMPUTE_PGM_RSRC2:SCRATCH_EN: 0
; COMPUTE_PGM_RSRC2:USER_SGPR: 0
; COMPUTE_PGM_RSRC2:TRAP_HANDLER: 0
; COMPUTE_PGM_RSRC2:TGID_X_EN: 1
; COMPUTE_PGM_RSRC2:TGID_Y_EN: 0
; COMPUTE_PGM_RSRC2:TGID_Z_EN: 0
; COMPUTE_PGM_RSRC2:TIDIG_COMP_CNT: 0
	.section	.text._ZN2ck45kernel_gemm_xdl_cshuffle_v3_b_preshuffle_2ldsINS_41GridwiseGemm_xdl_cshuffle_v3_b_preshuffleINS_13tensor_layout4gemm8RowMajorENS3_11ColumnMajorES4_NS_9f8_fnuz_tENS_7pk_i4_tEfDF16_DF16_NS_16tensor_operation12element_wise11PassThroughESA_SA_LNS8_6device18GemmSpecializationE0ELi256ELi256ELi256ELi128ELi16ELi32ELi16ELi16ELi8ELi8ENS_8SequenceIJLi8ELi32ELi1EEEENSD_IJLi1ELi0ELi2EEEESF_Li2ELi16ELi16ELb0ELi0ENSD_IJLi4ELi64ELi1EEEESF_SF_Li2ELi32ELi32ELb0ELi0ELi1ELi1ENSD_IJLi1ELi32ELi1ELi8EEEELi4ELNS_26BlockGemmPipelineSchedulerE0ELNS_24BlockGemmPipelineVersionE2ES6_S6_Lb0ELb0ELi0EEELb1ELNS_25InMemoryDataOperationEnumE1ELi1ELNS_10TailNumberE0EEEvNT_8ArgumentE,"axG",@progbits,_ZN2ck45kernel_gemm_xdl_cshuffle_v3_b_preshuffle_2ldsINS_41GridwiseGemm_xdl_cshuffle_v3_b_preshuffleINS_13tensor_layout4gemm8RowMajorENS3_11ColumnMajorES4_NS_9f8_fnuz_tENS_7pk_i4_tEfDF16_DF16_NS_16tensor_operation12element_wise11PassThroughESA_SA_LNS8_6device18GemmSpecializationE0ELi256ELi256ELi256ELi128ELi16ELi32ELi16ELi16ELi8ELi8ENS_8SequenceIJLi8ELi32ELi1EEEENSD_IJLi1ELi0ELi2EEEESF_Li2ELi16ELi16ELb0ELi0ENSD_IJLi4ELi64ELi1EEEESF_SF_Li2ELi32ELi32ELb0ELi0ELi1ELi1ENSD_IJLi1ELi32ELi1ELi8EEEELi4ELNS_26BlockGemmPipelineSchedulerE0ELNS_24BlockGemmPipelineVersionE2ES6_S6_Lb0ELb0ELi0EEELb1ELNS_25InMemoryDataOperationEnumE1ELi1ELNS_10TailNumberE0EEEvNT_8ArgumentE,comdat
	.protected	_ZN2ck45kernel_gemm_xdl_cshuffle_v3_b_preshuffle_2ldsINS_41GridwiseGemm_xdl_cshuffle_v3_b_preshuffleINS_13tensor_layout4gemm8RowMajorENS3_11ColumnMajorES4_NS_9f8_fnuz_tENS_7pk_i4_tEfDF16_DF16_NS_16tensor_operation12element_wise11PassThroughESA_SA_LNS8_6device18GemmSpecializationE0ELi256ELi256ELi256ELi128ELi16ELi32ELi16ELi16ELi8ELi8ENS_8SequenceIJLi8ELi32ELi1EEEENSD_IJLi1ELi0ELi2EEEESF_Li2ELi16ELi16ELb0ELi0ENSD_IJLi4ELi64ELi1EEEESF_SF_Li2ELi32ELi32ELb0ELi0ELi1ELi1ENSD_IJLi1ELi32ELi1ELi8EEEELi4ELNS_26BlockGemmPipelineSchedulerE0ELNS_24BlockGemmPipelineVersionE2ES6_S6_Lb0ELb0ELi0EEELb1ELNS_25InMemoryDataOperationEnumE1ELi1ELNS_10TailNumberE0EEEvNT_8ArgumentE ; -- Begin function _ZN2ck45kernel_gemm_xdl_cshuffle_v3_b_preshuffle_2ldsINS_41GridwiseGemm_xdl_cshuffle_v3_b_preshuffleINS_13tensor_layout4gemm8RowMajorENS3_11ColumnMajorES4_NS_9f8_fnuz_tENS_7pk_i4_tEfDF16_DF16_NS_16tensor_operation12element_wise11PassThroughESA_SA_LNS8_6device18GemmSpecializationE0ELi256ELi256ELi256ELi128ELi16ELi32ELi16ELi16ELi8ELi8ENS_8SequenceIJLi8ELi32ELi1EEEENSD_IJLi1ELi0ELi2EEEESF_Li2ELi16ELi16ELb0ELi0ENSD_IJLi4ELi64ELi1EEEESF_SF_Li2ELi32ELi32ELb0ELi0ELi1ELi1ENSD_IJLi1ELi32ELi1ELi8EEEELi4ELNS_26BlockGemmPipelineSchedulerE0ELNS_24BlockGemmPipelineVersionE2ES6_S6_Lb0ELb0ELi0EEELb1ELNS_25InMemoryDataOperationEnumE1ELi1ELNS_10TailNumberE0EEEvNT_8ArgumentE
	.globl	_ZN2ck45kernel_gemm_xdl_cshuffle_v3_b_preshuffle_2ldsINS_41GridwiseGemm_xdl_cshuffle_v3_b_preshuffleINS_13tensor_layout4gemm8RowMajorENS3_11ColumnMajorES4_NS_9f8_fnuz_tENS_7pk_i4_tEfDF16_DF16_NS_16tensor_operation12element_wise11PassThroughESA_SA_LNS8_6device18GemmSpecializationE0ELi256ELi256ELi256ELi128ELi16ELi32ELi16ELi16ELi8ELi8ENS_8SequenceIJLi8ELi32ELi1EEEENSD_IJLi1ELi0ELi2EEEESF_Li2ELi16ELi16ELb0ELi0ENSD_IJLi4ELi64ELi1EEEESF_SF_Li2ELi32ELi32ELb0ELi0ELi1ELi1ENSD_IJLi1ELi32ELi1ELi8EEEELi4ELNS_26BlockGemmPipelineSchedulerE0ELNS_24BlockGemmPipelineVersionE2ES6_S6_Lb0ELb0ELi0EEELb1ELNS_25InMemoryDataOperationEnumE1ELi1ELNS_10TailNumberE0EEEvNT_8ArgumentE
	.p2align	8
	.type	_ZN2ck45kernel_gemm_xdl_cshuffle_v3_b_preshuffle_2ldsINS_41GridwiseGemm_xdl_cshuffle_v3_b_preshuffleINS_13tensor_layout4gemm8RowMajorENS3_11ColumnMajorES4_NS_9f8_fnuz_tENS_7pk_i4_tEfDF16_DF16_NS_16tensor_operation12element_wise11PassThroughESA_SA_LNS8_6device18GemmSpecializationE0ELi256ELi256ELi256ELi128ELi16ELi32ELi16ELi16ELi8ELi8ENS_8SequenceIJLi8ELi32ELi1EEEENSD_IJLi1ELi0ELi2EEEESF_Li2ELi16ELi16ELb0ELi0ENSD_IJLi4ELi64ELi1EEEESF_SF_Li2ELi32ELi32ELb0ELi0ELi1ELi1ENSD_IJLi1ELi32ELi1ELi8EEEELi4ELNS_26BlockGemmPipelineSchedulerE0ELNS_24BlockGemmPipelineVersionE2ES6_S6_Lb0ELb0ELi0EEELb1ELNS_25InMemoryDataOperationEnumE1ELi1ELNS_10TailNumberE0EEEvNT_8ArgumentE,@function
_ZN2ck45kernel_gemm_xdl_cshuffle_v3_b_preshuffle_2ldsINS_41GridwiseGemm_xdl_cshuffle_v3_b_preshuffleINS_13tensor_layout4gemm8RowMajorENS3_11ColumnMajorES4_NS_9f8_fnuz_tENS_7pk_i4_tEfDF16_DF16_NS_16tensor_operation12element_wise11PassThroughESA_SA_LNS8_6device18GemmSpecializationE0ELi256ELi256ELi256ELi128ELi16ELi32ELi16ELi16ELi8ELi8ENS_8SequenceIJLi8ELi32ELi1EEEENSD_IJLi1ELi0ELi2EEEESF_Li2ELi16ELi16ELb0ELi0ENSD_IJLi4ELi64ELi1EEEESF_SF_Li2ELi32ELi32ELb0ELi0ELi1ELi1ENSD_IJLi1ELi32ELi1ELi8EEEELi4ELNS_26BlockGemmPipelineSchedulerE0ELNS_24BlockGemmPipelineVersionE2ES6_S6_Lb0ELb0ELi0EEELb1ELNS_25InMemoryDataOperationEnumE1ELi1ELNS_10TailNumberE0EEEvNT_8ArgumentE: ; @_ZN2ck45kernel_gemm_xdl_cshuffle_v3_b_preshuffle_2ldsINS_41GridwiseGemm_xdl_cshuffle_v3_b_preshuffleINS_13tensor_layout4gemm8RowMajorENS3_11ColumnMajorES4_NS_9f8_fnuz_tENS_7pk_i4_tEfDF16_DF16_NS_16tensor_operation12element_wise11PassThroughESA_SA_LNS8_6device18GemmSpecializationE0ELi256ELi256ELi256ELi128ELi16ELi32ELi16ELi16ELi8ELi8ENS_8SequenceIJLi8ELi32ELi1EEEENSD_IJLi1ELi0ELi2EEEESF_Li2ELi16ELi16ELb0ELi0ENSD_IJLi4ELi64ELi1EEEESF_SF_Li2ELi32ELi32ELb0ELi0ELi1ELi1ENSD_IJLi1ELi32ELi1ELi8EEEELi4ELNS_26BlockGemmPipelineSchedulerE0ELNS_24BlockGemmPipelineVersionE2ES6_S6_Lb0ELb0ELi0EEELb1ELNS_25InMemoryDataOperationEnumE1ELi1ELNS_10TailNumberE0EEEvNT_8ArgumentE
; %bb.0:
	s_endpgm
	.section	.rodata,"a",@progbits
	.p2align	6, 0x0
	.amdhsa_kernel _ZN2ck45kernel_gemm_xdl_cshuffle_v3_b_preshuffle_2ldsINS_41GridwiseGemm_xdl_cshuffle_v3_b_preshuffleINS_13tensor_layout4gemm8RowMajorENS3_11ColumnMajorES4_NS_9f8_fnuz_tENS_7pk_i4_tEfDF16_DF16_NS_16tensor_operation12element_wise11PassThroughESA_SA_LNS8_6device18GemmSpecializationE0ELi256ELi256ELi256ELi128ELi16ELi32ELi16ELi16ELi8ELi8ENS_8SequenceIJLi8ELi32ELi1EEEENSD_IJLi1ELi0ELi2EEEESF_Li2ELi16ELi16ELb0ELi0ENSD_IJLi4ELi64ELi1EEEESF_SF_Li2ELi32ELi32ELb0ELi0ELi1ELi1ENSD_IJLi1ELi32ELi1ELi8EEEELi4ELNS_26BlockGemmPipelineSchedulerE0ELNS_24BlockGemmPipelineVersionE2ES6_S6_Lb0ELb0ELi0EEELb1ELNS_25InMemoryDataOperationEnumE1ELi1ELNS_10TailNumberE0EEEvNT_8ArgumentE
		.amdhsa_group_segment_fixed_size 0
		.amdhsa_private_segment_fixed_size 0
		.amdhsa_kernarg_size 112
		.amdhsa_user_sgpr_count 2
		.amdhsa_user_sgpr_dispatch_ptr 0
		.amdhsa_user_sgpr_queue_ptr 0
		.amdhsa_user_sgpr_kernarg_segment_ptr 1
		.amdhsa_user_sgpr_dispatch_id 0
		.amdhsa_user_sgpr_private_segment_size 0
		.amdhsa_wavefront_size32 1
		.amdhsa_uses_dynamic_stack 0
		.amdhsa_enable_private_segment 0
		.amdhsa_system_sgpr_workgroup_id_x 1
		.amdhsa_system_sgpr_workgroup_id_y 0
		.amdhsa_system_sgpr_workgroup_id_z 0
		.amdhsa_system_sgpr_workgroup_info 0
		.amdhsa_system_vgpr_workitem_id 0
		.amdhsa_next_free_vgpr 1
		.amdhsa_next_free_sgpr 1
		.amdhsa_reserve_vcc 0
		.amdhsa_float_round_mode_32 0
		.amdhsa_float_round_mode_16_64 0
		.amdhsa_float_denorm_mode_32 3
		.amdhsa_float_denorm_mode_16_64 3
		.amdhsa_fp16_overflow 0
		.amdhsa_workgroup_processor_mode 1
		.amdhsa_memory_ordered 1
		.amdhsa_forward_progress 1
		.amdhsa_inst_pref_size 1
		.amdhsa_round_robin_scheduling 0
		.amdhsa_exception_fp_ieee_invalid_op 0
		.amdhsa_exception_fp_denorm_src 0
		.amdhsa_exception_fp_ieee_div_zero 0
		.amdhsa_exception_fp_ieee_overflow 0
		.amdhsa_exception_fp_ieee_underflow 0
		.amdhsa_exception_fp_ieee_inexact 0
		.amdhsa_exception_int_div_zero 0
	.end_amdhsa_kernel
	.section	.text._ZN2ck45kernel_gemm_xdl_cshuffle_v3_b_preshuffle_2ldsINS_41GridwiseGemm_xdl_cshuffle_v3_b_preshuffleINS_13tensor_layout4gemm8RowMajorENS3_11ColumnMajorES4_NS_9f8_fnuz_tENS_7pk_i4_tEfDF16_DF16_NS_16tensor_operation12element_wise11PassThroughESA_SA_LNS8_6device18GemmSpecializationE0ELi256ELi256ELi256ELi128ELi16ELi32ELi16ELi16ELi8ELi8ENS_8SequenceIJLi8ELi32ELi1EEEENSD_IJLi1ELi0ELi2EEEESF_Li2ELi16ELi16ELb0ELi0ENSD_IJLi4ELi64ELi1EEEESF_SF_Li2ELi32ELi32ELb0ELi0ELi1ELi1ENSD_IJLi1ELi32ELi1ELi8EEEELi4ELNS_26BlockGemmPipelineSchedulerE0ELNS_24BlockGemmPipelineVersionE2ES6_S6_Lb0ELb0ELi0EEELb1ELNS_25InMemoryDataOperationEnumE1ELi1ELNS_10TailNumberE0EEEvNT_8ArgumentE,"axG",@progbits,_ZN2ck45kernel_gemm_xdl_cshuffle_v3_b_preshuffle_2ldsINS_41GridwiseGemm_xdl_cshuffle_v3_b_preshuffleINS_13tensor_layout4gemm8RowMajorENS3_11ColumnMajorES4_NS_9f8_fnuz_tENS_7pk_i4_tEfDF16_DF16_NS_16tensor_operation12element_wise11PassThroughESA_SA_LNS8_6device18GemmSpecializationE0ELi256ELi256ELi256ELi128ELi16ELi32ELi16ELi16ELi8ELi8ENS_8SequenceIJLi8ELi32ELi1EEEENSD_IJLi1ELi0ELi2EEEESF_Li2ELi16ELi16ELb0ELi0ENSD_IJLi4ELi64ELi1EEEESF_SF_Li2ELi32ELi32ELb0ELi0ELi1ELi1ENSD_IJLi1ELi32ELi1ELi8EEEELi4ELNS_26BlockGemmPipelineSchedulerE0ELNS_24BlockGemmPipelineVersionE2ES6_S6_Lb0ELb0ELi0EEELb1ELNS_25InMemoryDataOperationEnumE1ELi1ELNS_10TailNumberE0EEEvNT_8ArgumentE,comdat
.Lfunc_end1:
	.size	_ZN2ck45kernel_gemm_xdl_cshuffle_v3_b_preshuffle_2ldsINS_41GridwiseGemm_xdl_cshuffle_v3_b_preshuffleINS_13tensor_layout4gemm8RowMajorENS3_11ColumnMajorES4_NS_9f8_fnuz_tENS_7pk_i4_tEfDF16_DF16_NS_16tensor_operation12element_wise11PassThroughESA_SA_LNS8_6device18GemmSpecializationE0ELi256ELi256ELi256ELi128ELi16ELi32ELi16ELi16ELi8ELi8ENS_8SequenceIJLi8ELi32ELi1EEEENSD_IJLi1ELi0ELi2EEEESF_Li2ELi16ELi16ELb0ELi0ENSD_IJLi4ELi64ELi1EEEESF_SF_Li2ELi32ELi32ELb0ELi0ELi1ELi1ENSD_IJLi1ELi32ELi1ELi8EEEELi4ELNS_26BlockGemmPipelineSchedulerE0ELNS_24BlockGemmPipelineVersionE2ES6_S6_Lb0ELb0ELi0EEELb1ELNS_25InMemoryDataOperationEnumE1ELi1ELNS_10TailNumberE0EEEvNT_8ArgumentE, .Lfunc_end1-_ZN2ck45kernel_gemm_xdl_cshuffle_v3_b_preshuffle_2ldsINS_41GridwiseGemm_xdl_cshuffle_v3_b_preshuffleINS_13tensor_layout4gemm8RowMajorENS3_11ColumnMajorES4_NS_9f8_fnuz_tENS_7pk_i4_tEfDF16_DF16_NS_16tensor_operation12element_wise11PassThroughESA_SA_LNS8_6device18GemmSpecializationE0ELi256ELi256ELi256ELi128ELi16ELi32ELi16ELi16ELi8ELi8ENS_8SequenceIJLi8ELi32ELi1EEEENSD_IJLi1ELi0ELi2EEEESF_Li2ELi16ELi16ELb0ELi0ENSD_IJLi4ELi64ELi1EEEESF_SF_Li2ELi32ELi32ELb0ELi0ELi1ELi1ENSD_IJLi1ELi32ELi1ELi8EEEELi4ELNS_26BlockGemmPipelineSchedulerE0ELNS_24BlockGemmPipelineVersionE2ES6_S6_Lb0ELb0ELi0EEELb1ELNS_25InMemoryDataOperationEnumE1ELi1ELNS_10TailNumberE0EEEvNT_8ArgumentE
                                        ; -- End function
	.set _ZN2ck45kernel_gemm_xdl_cshuffle_v3_b_preshuffle_2ldsINS_41GridwiseGemm_xdl_cshuffle_v3_b_preshuffleINS_13tensor_layout4gemm8RowMajorENS3_11ColumnMajorES4_NS_9f8_fnuz_tENS_7pk_i4_tEfDF16_DF16_NS_16tensor_operation12element_wise11PassThroughESA_SA_LNS8_6device18GemmSpecializationE0ELi256ELi256ELi256ELi128ELi16ELi32ELi16ELi16ELi8ELi8ENS_8SequenceIJLi8ELi32ELi1EEEENSD_IJLi1ELi0ELi2EEEESF_Li2ELi16ELi16ELb0ELi0ENSD_IJLi4ELi64ELi1EEEESF_SF_Li2ELi32ELi32ELb0ELi0ELi1ELi1ENSD_IJLi1ELi32ELi1ELi8EEEELi4ELNS_26BlockGemmPipelineSchedulerE0ELNS_24BlockGemmPipelineVersionE2ES6_S6_Lb0ELb0ELi0EEELb1ELNS_25InMemoryDataOperationEnumE1ELi1ELNS_10TailNumberE0EEEvNT_8ArgumentE.num_vgpr, 0
	.set _ZN2ck45kernel_gemm_xdl_cshuffle_v3_b_preshuffle_2ldsINS_41GridwiseGemm_xdl_cshuffle_v3_b_preshuffleINS_13tensor_layout4gemm8RowMajorENS3_11ColumnMajorES4_NS_9f8_fnuz_tENS_7pk_i4_tEfDF16_DF16_NS_16tensor_operation12element_wise11PassThroughESA_SA_LNS8_6device18GemmSpecializationE0ELi256ELi256ELi256ELi128ELi16ELi32ELi16ELi16ELi8ELi8ENS_8SequenceIJLi8ELi32ELi1EEEENSD_IJLi1ELi0ELi2EEEESF_Li2ELi16ELi16ELb0ELi0ENSD_IJLi4ELi64ELi1EEEESF_SF_Li2ELi32ELi32ELb0ELi0ELi1ELi1ENSD_IJLi1ELi32ELi1ELi8EEEELi4ELNS_26BlockGemmPipelineSchedulerE0ELNS_24BlockGemmPipelineVersionE2ES6_S6_Lb0ELb0ELi0EEELb1ELNS_25InMemoryDataOperationEnumE1ELi1ELNS_10TailNumberE0EEEvNT_8ArgumentE.num_agpr, 0
	.set _ZN2ck45kernel_gemm_xdl_cshuffle_v3_b_preshuffle_2ldsINS_41GridwiseGemm_xdl_cshuffle_v3_b_preshuffleINS_13tensor_layout4gemm8RowMajorENS3_11ColumnMajorES4_NS_9f8_fnuz_tENS_7pk_i4_tEfDF16_DF16_NS_16tensor_operation12element_wise11PassThroughESA_SA_LNS8_6device18GemmSpecializationE0ELi256ELi256ELi256ELi128ELi16ELi32ELi16ELi16ELi8ELi8ENS_8SequenceIJLi8ELi32ELi1EEEENSD_IJLi1ELi0ELi2EEEESF_Li2ELi16ELi16ELb0ELi0ENSD_IJLi4ELi64ELi1EEEESF_SF_Li2ELi32ELi32ELb0ELi0ELi1ELi1ENSD_IJLi1ELi32ELi1ELi8EEEELi4ELNS_26BlockGemmPipelineSchedulerE0ELNS_24BlockGemmPipelineVersionE2ES6_S6_Lb0ELb0ELi0EEELb1ELNS_25InMemoryDataOperationEnumE1ELi1ELNS_10TailNumberE0EEEvNT_8ArgumentE.numbered_sgpr, 0
	.set _ZN2ck45kernel_gemm_xdl_cshuffle_v3_b_preshuffle_2ldsINS_41GridwiseGemm_xdl_cshuffle_v3_b_preshuffleINS_13tensor_layout4gemm8RowMajorENS3_11ColumnMajorES4_NS_9f8_fnuz_tENS_7pk_i4_tEfDF16_DF16_NS_16tensor_operation12element_wise11PassThroughESA_SA_LNS8_6device18GemmSpecializationE0ELi256ELi256ELi256ELi128ELi16ELi32ELi16ELi16ELi8ELi8ENS_8SequenceIJLi8ELi32ELi1EEEENSD_IJLi1ELi0ELi2EEEESF_Li2ELi16ELi16ELb0ELi0ENSD_IJLi4ELi64ELi1EEEESF_SF_Li2ELi32ELi32ELb0ELi0ELi1ELi1ENSD_IJLi1ELi32ELi1ELi8EEEELi4ELNS_26BlockGemmPipelineSchedulerE0ELNS_24BlockGemmPipelineVersionE2ES6_S6_Lb0ELb0ELi0EEELb1ELNS_25InMemoryDataOperationEnumE1ELi1ELNS_10TailNumberE0EEEvNT_8ArgumentE.num_named_barrier, 0
	.set _ZN2ck45kernel_gemm_xdl_cshuffle_v3_b_preshuffle_2ldsINS_41GridwiseGemm_xdl_cshuffle_v3_b_preshuffleINS_13tensor_layout4gemm8RowMajorENS3_11ColumnMajorES4_NS_9f8_fnuz_tENS_7pk_i4_tEfDF16_DF16_NS_16tensor_operation12element_wise11PassThroughESA_SA_LNS8_6device18GemmSpecializationE0ELi256ELi256ELi256ELi128ELi16ELi32ELi16ELi16ELi8ELi8ENS_8SequenceIJLi8ELi32ELi1EEEENSD_IJLi1ELi0ELi2EEEESF_Li2ELi16ELi16ELb0ELi0ENSD_IJLi4ELi64ELi1EEEESF_SF_Li2ELi32ELi32ELb0ELi0ELi1ELi1ENSD_IJLi1ELi32ELi1ELi8EEEELi4ELNS_26BlockGemmPipelineSchedulerE0ELNS_24BlockGemmPipelineVersionE2ES6_S6_Lb0ELb0ELi0EEELb1ELNS_25InMemoryDataOperationEnumE1ELi1ELNS_10TailNumberE0EEEvNT_8ArgumentE.private_seg_size, 0
	.set _ZN2ck45kernel_gemm_xdl_cshuffle_v3_b_preshuffle_2ldsINS_41GridwiseGemm_xdl_cshuffle_v3_b_preshuffleINS_13tensor_layout4gemm8RowMajorENS3_11ColumnMajorES4_NS_9f8_fnuz_tENS_7pk_i4_tEfDF16_DF16_NS_16tensor_operation12element_wise11PassThroughESA_SA_LNS8_6device18GemmSpecializationE0ELi256ELi256ELi256ELi128ELi16ELi32ELi16ELi16ELi8ELi8ENS_8SequenceIJLi8ELi32ELi1EEEENSD_IJLi1ELi0ELi2EEEESF_Li2ELi16ELi16ELb0ELi0ENSD_IJLi4ELi64ELi1EEEESF_SF_Li2ELi32ELi32ELb0ELi0ELi1ELi1ENSD_IJLi1ELi32ELi1ELi8EEEELi4ELNS_26BlockGemmPipelineSchedulerE0ELNS_24BlockGemmPipelineVersionE2ES6_S6_Lb0ELb0ELi0EEELb1ELNS_25InMemoryDataOperationEnumE1ELi1ELNS_10TailNumberE0EEEvNT_8ArgumentE.uses_vcc, 0
	.set _ZN2ck45kernel_gemm_xdl_cshuffle_v3_b_preshuffle_2ldsINS_41GridwiseGemm_xdl_cshuffle_v3_b_preshuffleINS_13tensor_layout4gemm8RowMajorENS3_11ColumnMajorES4_NS_9f8_fnuz_tENS_7pk_i4_tEfDF16_DF16_NS_16tensor_operation12element_wise11PassThroughESA_SA_LNS8_6device18GemmSpecializationE0ELi256ELi256ELi256ELi128ELi16ELi32ELi16ELi16ELi8ELi8ENS_8SequenceIJLi8ELi32ELi1EEEENSD_IJLi1ELi0ELi2EEEESF_Li2ELi16ELi16ELb0ELi0ENSD_IJLi4ELi64ELi1EEEESF_SF_Li2ELi32ELi32ELb0ELi0ELi1ELi1ENSD_IJLi1ELi32ELi1ELi8EEEELi4ELNS_26BlockGemmPipelineSchedulerE0ELNS_24BlockGemmPipelineVersionE2ES6_S6_Lb0ELb0ELi0EEELb1ELNS_25InMemoryDataOperationEnumE1ELi1ELNS_10TailNumberE0EEEvNT_8ArgumentE.uses_flat_scratch, 0
	.set _ZN2ck45kernel_gemm_xdl_cshuffle_v3_b_preshuffle_2ldsINS_41GridwiseGemm_xdl_cshuffle_v3_b_preshuffleINS_13tensor_layout4gemm8RowMajorENS3_11ColumnMajorES4_NS_9f8_fnuz_tENS_7pk_i4_tEfDF16_DF16_NS_16tensor_operation12element_wise11PassThroughESA_SA_LNS8_6device18GemmSpecializationE0ELi256ELi256ELi256ELi128ELi16ELi32ELi16ELi16ELi8ELi8ENS_8SequenceIJLi8ELi32ELi1EEEENSD_IJLi1ELi0ELi2EEEESF_Li2ELi16ELi16ELb0ELi0ENSD_IJLi4ELi64ELi1EEEESF_SF_Li2ELi32ELi32ELb0ELi0ELi1ELi1ENSD_IJLi1ELi32ELi1ELi8EEEELi4ELNS_26BlockGemmPipelineSchedulerE0ELNS_24BlockGemmPipelineVersionE2ES6_S6_Lb0ELb0ELi0EEELb1ELNS_25InMemoryDataOperationEnumE1ELi1ELNS_10TailNumberE0EEEvNT_8ArgumentE.has_dyn_sized_stack, 0
	.set _ZN2ck45kernel_gemm_xdl_cshuffle_v3_b_preshuffle_2ldsINS_41GridwiseGemm_xdl_cshuffle_v3_b_preshuffleINS_13tensor_layout4gemm8RowMajorENS3_11ColumnMajorES4_NS_9f8_fnuz_tENS_7pk_i4_tEfDF16_DF16_NS_16tensor_operation12element_wise11PassThroughESA_SA_LNS8_6device18GemmSpecializationE0ELi256ELi256ELi256ELi128ELi16ELi32ELi16ELi16ELi8ELi8ENS_8SequenceIJLi8ELi32ELi1EEEENSD_IJLi1ELi0ELi2EEEESF_Li2ELi16ELi16ELb0ELi0ENSD_IJLi4ELi64ELi1EEEESF_SF_Li2ELi32ELi32ELb0ELi0ELi1ELi1ENSD_IJLi1ELi32ELi1ELi8EEEELi4ELNS_26BlockGemmPipelineSchedulerE0ELNS_24BlockGemmPipelineVersionE2ES6_S6_Lb0ELb0ELi0EEELb1ELNS_25InMemoryDataOperationEnumE1ELi1ELNS_10TailNumberE0EEEvNT_8ArgumentE.has_recursion, 0
	.set _ZN2ck45kernel_gemm_xdl_cshuffle_v3_b_preshuffle_2ldsINS_41GridwiseGemm_xdl_cshuffle_v3_b_preshuffleINS_13tensor_layout4gemm8RowMajorENS3_11ColumnMajorES4_NS_9f8_fnuz_tENS_7pk_i4_tEfDF16_DF16_NS_16tensor_operation12element_wise11PassThroughESA_SA_LNS8_6device18GemmSpecializationE0ELi256ELi256ELi256ELi128ELi16ELi32ELi16ELi16ELi8ELi8ENS_8SequenceIJLi8ELi32ELi1EEEENSD_IJLi1ELi0ELi2EEEESF_Li2ELi16ELi16ELb0ELi0ENSD_IJLi4ELi64ELi1EEEESF_SF_Li2ELi32ELi32ELb0ELi0ELi1ELi1ENSD_IJLi1ELi32ELi1ELi8EEEELi4ELNS_26BlockGemmPipelineSchedulerE0ELNS_24BlockGemmPipelineVersionE2ES6_S6_Lb0ELb0ELi0EEELb1ELNS_25InMemoryDataOperationEnumE1ELi1ELNS_10TailNumberE0EEEvNT_8ArgumentE.has_indirect_call, 0
	.section	.AMDGPU.csdata,"",@progbits
; Kernel info:
; codeLenInByte = 4
; TotalNumSgprs: 0
; NumVgprs: 0
; ScratchSize: 0
; MemoryBound: 0
; FloatMode: 240
; IeeeMode: 1
; LDSByteSize: 0 bytes/workgroup (compile time only)
; SGPRBlocks: 0
; VGPRBlocks: 0
; NumSGPRsForWavesPerEU: 1
; NumVGPRsForWavesPerEU: 1
; Occupancy: 16
; WaveLimiterHint : 0
; COMPUTE_PGM_RSRC2:SCRATCH_EN: 0
; COMPUTE_PGM_RSRC2:USER_SGPR: 2
; COMPUTE_PGM_RSRC2:TRAP_HANDLER: 0
; COMPUTE_PGM_RSRC2:TGID_X_EN: 1
; COMPUTE_PGM_RSRC2:TGID_Y_EN: 0
; COMPUTE_PGM_RSRC2:TGID_Z_EN: 0
; COMPUTE_PGM_RSRC2:TIDIG_COMP_CNT: 0
	.section	.text._ZN2ck45kernel_gemm_xdl_cshuffle_v3_b_preshuffle_2ldsINS_41GridwiseGemm_xdl_cshuffle_v3_b_preshuffleINS_13tensor_layout4gemm8RowMajorENS3_11ColumnMajorES4_NS_9f8_fnuz_tENS_7pk_i4_tEfDF16_DF16_NS_16tensor_operation12element_wise11PassThroughESA_SA_LNS8_6device18GemmSpecializationE0ELi256ELi256ELi256ELi128ELi16ELi32ELi16ELi16ELi8ELi8ENS_8SequenceIJLi8ELi32ELi1EEEENSD_IJLi1ELi0ELi2EEEESF_Li2ELi16ELi16ELb0ELi0ENSD_IJLi4ELi64ELi1EEEESF_SF_Li2ELi32ELi32ELb0ELi0ELi1ELi1ENSD_IJLi1ELi32ELi1ELi8EEEELi4ELNS_26BlockGemmPipelineSchedulerE0ELNS_24BlockGemmPipelineVersionE2ES6_S6_Lb0ELb0ELi0EEELb1ELNS_25InMemoryDataOperationEnumE1ELi1ELNS_10TailNumberE1EEEvNT_8ArgumentE,"axG",@progbits,_ZN2ck45kernel_gemm_xdl_cshuffle_v3_b_preshuffle_2ldsINS_41GridwiseGemm_xdl_cshuffle_v3_b_preshuffleINS_13tensor_layout4gemm8RowMajorENS3_11ColumnMajorES4_NS_9f8_fnuz_tENS_7pk_i4_tEfDF16_DF16_NS_16tensor_operation12element_wise11PassThroughESA_SA_LNS8_6device18GemmSpecializationE0ELi256ELi256ELi256ELi128ELi16ELi32ELi16ELi16ELi8ELi8ENS_8SequenceIJLi8ELi32ELi1EEEENSD_IJLi1ELi0ELi2EEEESF_Li2ELi16ELi16ELb0ELi0ENSD_IJLi4ELi64ELi1EEEESF_SF_Li2ELi32ELi32ELb0ELi0ELi1ELi1ENSD_IJLi1ELi32ELi1ELi8EEEELi4ELNS_26BlockGemmPipelineSchedulerE0ELNS_24BlockGemmPipelineVersionE2ES6_S6_Lb0ELb0ELi0EEELb1ELNS_25InMemoryDataOperationEnumE1ELi1ELNS_10TailNumberE1EEEvNT_8ArgumentE,comdat
	.protected	_ZN2ck45kernel_gemm_xdl_cshuffle_v3_b_preshuffle_2ldsINS_41GridwiseGemm_xdl_cshuffle_v3_b_preshuffleINS_13tensor_layout4gemm8RowMajorENS3_11ColumnMajorES4_NS_9f8_fnuz_tENS_7pk_i4_tEfDF16_DF16_NS_16tensor_operation12element_wise11PassThroughESA_SA_LNS8_6device18GemmSpecializationE0ELi256ELi256ELi256ELi128ELi16ELi32ELi16ELi16ELi8ELi8ENS_8SequenceIJLi8ELi32ELi1EEEENSD_IJLi1ELi0ELi2EEEESF_Li2ELi16ELi16ELb0ELi0ENSD_IJLi4ELi64ELi1EEEESF_SF_Li2ELi32ELi32ELb0ELi0ELi1ELi1ENSD_IJLi1ELi32ELi1ELi8EEEELi4ELNS_26BlockGemmPipelineSchedulerE0ELNS_24BlockGemmPipelineVersionE2ES6_S6_Lb0ELb0ELi0EEELb1ELNS_25InMemoryDataOperationEnumE1ELi1ELNS_10TailNumberE1EEEvNT_8ArgumentE ; -- Begin function _ZN2ck45kernel_gemm_xdl_cshuffle_v3_b_preshuffle_2ldsINS_41GridwiseGemm_xdl_cshuffle_v3_b_preshuffleINS_13tensor_layout4gemm8RowMajorENS3_11ColumnMajorES4_NS_9f8_fnuz_tENS_7pk_i4_tEfDF16_DF16_NS_16tensor_operation12element_wise11PassThroughESA_SA_LNS8_6device18GemmSpecializationE0ELi256ELi256ELi256ELi128ELi16ELi32ELi16ELi16ELi8ELi8ENS_8SequenceIJLi8ELi32ELi1EEEENSD_IJLi1ELi0ELi2EEEESF_Li2ELi16ELi16ELb0ELi0ENSD_IJLi4ELi64ELi1EEEESF_SF_Li2ELi32ELi32ELb0ELi0ELi1ELi1ENSD_IJLi1ELi32ELi1ELi8EEEELi4ELNS_26BlockGemmPipelineSchedulerE0ELNS_24BlockGemmPipelineVersionE2ES6_S6_Lb0ELb0ELi0EEELb1ELNS_25InMemoryDataOperationEnumE1ELi1ELNS_10TailNumberE1EEEvNT_8ArgumentE
	.globl	_ZN2ck45kernel_gemm_xdl_cshuffle_v3_b_preshuffle_2ldsINS_41GridwiseGemm_xdl_cshuffle_v3_b_preshuffleINS_13tensor_layout4gemm8RowMajorENS3_11ColumnMajorES4_NS_9f8_fnuz_tENS_7pk_i4_tEfDF16_DF16_NS_16tensor_operation12element_wise11PassThroughESA_SA_LNS8_6device18GemmSpecializationE0ELi256ELi256ELi256ELi128ELi16ELi32ELi16ELi16ELi8ELi8ENS_8SequenceIJLi8ELi32ELi1EEEENSD_IJLi1ELi0ELi2EEEESF_Li2ELi16ELi16ELb0ELi0ENSD_IJLi4ELi64ELi1EEEESF_SF_Li2ELi32ELi32ELb0ELi0ELi1ELi1ENSD_IJLi1ELi32ELi1ELi8EEEELi4ELNS_26BlockGemmPipelineSchedulerE0ELNS_24BlockGemmPipelineVersionE2ES6_S6_Lb0ELb0ELi0EEELb1ELNS_25InMemoryDataOperationEnumE1ELi1ELNS_10TailNumberE1EEEvNT_8ArgumentE
	.p2align	8
	.type	_ZN2ck45kernel_gemm_xdl_cshuffle_v3_b_preshuffle_2ldsINS_41GridwiseGemm_xdl_cshuffle_v3_b_preshuffleINS_13tensor_layout4gemm8RowMajorENS3_11ColumnMajorES4_NS_9f8_fnuz_tENS_7pk_i4_tEfDF16_DF16_NS_16tensor_operation12element_wise11PassThroughESA_SA_LNS8_6device18GemmSpecializationE0ELi256ELi256ELi256ELi128ELi16ELi32ELi16ELi16ELi8ELi8ENS_8SequenceIJLi8ELi32ELi1EEEENSD_IJLi1ELi0ELi2EEEESF_Li2ELi16ELi16ELb0ELi0ENSD_IJLi4ELi64ELi1EEEESF_SF_Li2ELi32ELi32ELb0ELi0ELi1ELi1ENSD_IJLi1ELi32ELi1ELi8EEEELi4ELNS_26BlockGemmPipelineSchedulerE0ELNS_24BlockGemmPipelineVersionE2ES6_S6_Lb0ELb0ELi0EEELb1ELNS_25InMemoryDataOperationEnumE1ELi1ELNS_10TailNumberE1EEEvNT_8ArgumentE,@function
_ZN2ck45kernel_gemm_xdl_cshuffle_v3_b_preshuffle_2ldsINS_41GridwiseGemm_xdl_cshuffle_v3_b_preshuffleINS_13tensor_layout4gemm8RowMajorENS3_11ColumnMajorES4_NS_9f8_fnuz_tENS_7pk_i4_tEfDF16_DF16_NS_16tensor_operation12element_wise11PassThroughESA_SA_LNS8_6device18GemmSpecializationE0ELi256ELi256ELi256ELi128ELi16ELi32ELi16ELi16ELi8ELi8ENS_8SequenceIJLi8ELi32ELi1EEEENSD_IJLi1ELi0ELi2EEEESF_Li2ELi16ELi16ELb0ELi0ENSD_IJLi4ELi64ELi1EEEESF_SF_Li2ELi32ELi32ELb0ELi0ELi1ELi1ENSD_IJLi1ELi32ELi1ELi8EEEELi4ELNS_26BlockGemmPipelineSchedulerE0ELNS_24BlockGemmPipelineVersionE2ES6_S6_Lb0ELb0ELi0EEELb1ELNS_25InMemoryDataOperationEnumE1ELi1ELNS_10TailNumberE1EEEvNT_8ArgumentE: ; @_ZN2ck45kernel_gemm_xdl_cshuffle_v3_b_preshuffle_2ldsINS_41GridwiseGemm_xdl_cshuffle_v3_b_preshuffleINS_13tensor_layout4gemm8RowMajorENS3_11ColumnMajorES4_NS_9f8_fnuz_tENS_7pk_i4_tEfDF16_DF16_NS_16tensor_operation12element_wise11PassThroughESA_SA_LNS8_6device18GemmSpecializationE0ELi256ELi256ELi256ELi128ELi16ELi32ELi16ELi16ELi8ELi8ENS_8SequenceIJLi8ELi32ELi1EEEENSD_IJLi1ELi0ELi2EEEESF_Li2ELi16ELi16ELb0ELi0ENSD_IJLi4ELi64ELi1EEEESF_SF_Li2ELi32ELi32ELb0ELi0ELi1ELi1ENSD_IJLi1ELi32ELi1ELi8EEEELi4ELNS_26BlockGemmPipelineSchedulerE0ELNS_24BlockGemmPipelineVersionE2ES6_S6_Lb0ELb0ELi0EEELb1ELNS_25InMemoryDataOperationEnumE1ELi1ELNS_10TailNumberE1EEEvNT_8ArgumentE
; %bb.0:
	s_endpgm
	.section	.rodata,"a",@progbits
	.p2align	6, 0x0
	.amdhsa_kernel _ZN2ck45kernel_gemm_xdl_cshuffle_v3_b_preshuffle_2ldsINS_41GridwiseGemm_xdl_cshuffle_v3_b_preshuffleINS_13tensor_layout4gemm8RowMajorENS3_11ColumnMajorES4_NS_9f8_fnuz_tENS_7pk_i4_tEfDF16_DF16_NS_16tensor_operation12element_wise11PassThroughESA_SA_LNS8_6device18GemmSpecializationE0ELi256ELi256ELi256ELi128ELi16ELi32ELi16ELi16ELi8ELi8ENS_8SequenceIJLi8ELi32ELi1EEEENSD_IJLi1ELi0ELi2EEEESF_Li2ELi16ELi16ELb0ELi0ENSD_IJLi4ELi64ELi1EEEESF_SF_Li2ELi32ELi32ELb0ELi0ELi1ELi1ENSD_IJLi1ELi32ELi1ELi8EEEELi4ELNS_26BlockGemmPipelineSchedulerE0ELNS_24BlockGemmPipelineVersionE2ES6_S6_Lb0ELb0ELi0EEELb1ELNS_25InMemoryDataOperationEnumE1ELi1ELNS_10TailNumberE1EEEvNT_8ArgumentE
		.amdhsa_group_segment_fixed_size 0
		.amdhsa_private_segment_fixed_size 0
		.amdhsa_kernarg_size 112
		.amdhsa_user_sgpr_count 2
		.amdhsa_user_sgpr_dispatch_ptr 0
		.amdhsa_user_sgpr_queue_ptr 0
		.amdhsa_user_sgpr_kernarg_segment_ptr 1
		.amdhsa_user_sgpr_dispatch_id 0
		.amdhsa_user_sgpr_private_segment_size 0
		.amdhsa_wavefront_size32 1
		.amdhsa_uses_dynamic_stack 0
		.amdhsa_enable_private_segment 0
		.amdhsa_system_sgpr_workgroup_id_x 1
		.amdhsa_system_sgpr_workgroup_id_y 0
		.amdhsa_system_sgpr_workgroup_id_z 0
		.amdhsa_system_sgpr_workgroup_info 0
		.amdhsa_system_vgpr_workitem_id 0
		.amdhsa_next_free_vgpr 1
		.amdhsa_next_free_sgpr 1
		.amdhsa_reserve_vcc 0
		.amdhsa_float_round_mode_32 0
		.amdhsa_float_round_mode_16_64 0
		.amdhsa_float_denorm_mode_32 3
		.amdhsa_float_denorm_mode_16_64 3
		.amdhsa_fp16_overflow 0
		.amdhsa_workgroup_processor_mode 1
		.amdhsa_memory_ordered 1
		.amdhsa_forward_progress 1
		.amdhsa_inst_pref_size 1
		.amdhsa_round_robin_scheduling 0
		.amdhsa_exception_fp_ieee_invalid_op 0
		.amdhsa_exception_fp_denorm_src 0
		.amdhsa_exception_fp_ieee_div_zero 0
		.amdhsa_exception_fp_ieee_overflow 0
		.amdhsa_exception_fp_ieee_underflow 0
		.amdhsa_exception_fp_ieee_inexact 0
		.amdhsa_exception_int_div_zero 0
	.end_amdhsa_kernel
	.section	.text._ZN2ck45kernel_gemm_xdl_cshuffle_v3_b_preshuffle_2ldsINS_41GridwiseGemm_xdl_cshuffle_v3_b_preshuffleINS_13tensor_layout4gemm8RowMajorENS3_11ColumnMajorES4_NS_9f8_fnuz_tENS_7pk_i4_tEfDF16_DF16_NS_16tensor_operation12element_wise11PassThroughESA_SA_LNS8_6device18GemmSpecializationE0ELi256ELi256ELi256ELi128ELi16ELi32ELi16ELi16ELi8ELi8ENS_8SequenceIJLi8ELi32ELi1EEEENSD_IJLi1ELi0ELi2EEEESF_Li2ELi16ELi16ELb0ELi0ENSD_IJLi4ELi64ELi1EEEESF_SF_Li2ELi32ELi32ELb0ELi0ELi1ELi1ENSD_IJLi1ELi32ELi1ELi8EEEELi4ELNS_26BlockGemmPipelineSchedulerE0ELNS_24BlockGemmPipelineVersionE2ES6_S6_Lb0ELb0ELi0EEELb1ELNS_25InMemoryDataOperationEnumE1ELi1ELNS_10TailNumberE1EEEvNT_8ArgumentE,"axG",@progbits,_ZN2ck45kernel_gemm_xdl_cshuffle_v3_b_preshuffle_2ldsINS_41GridwiseGemm_xdl_cshuffle_v3_b_preshuffleINS_13tensor_layout4gemm8RowMajorENS3_11ColumnMajorES4_NS_9f8_fnuz_tENS_7pk_i4_tEfDF16_DF16_NS_16tensor_operation12element_wise11PassThroughESA_SA_LNS8_6device18GemmSpecializationE0ELi256ELi256ELi256ELi128ELi16ELi32ELi16ELi16ELi8ELi8ENS_8SequenceIJLi8ELi32ELi1EEEENSD_IJLi1ELi0ELi2EEEESF_Li2ELi16ELi16ELb0ELi0ENSD_IJLi4ELi64ELi1EEEESF_SF_Li2ELi32ELi32ELb0ELi0ELi1ELi1ENSD_IJLi1ELi32ELi1ELi8EEEELi4ELNS_26BlockGemmPipelineSchedulerE0ELNS_24BlockGemmPipelineVersionE2ES6_S6_Lb0ELb0ELi0EEELb1ELNS_25InMemoryDataOperationEnumE1ELi1ELNS_10TailNumberE1EEEvNT_8ArgumentE,comdat
.Lfunc_end2:
	.size	_ZN2ck45kernel_gemm_xdl_cshuffle_v3_b_preshuffle_2ldsINS_41GridwiseGemm_xdl_cshuffle_v3_b_preshuffleINS_13tensor_layout4gemm8RowMajorENS3_11ColumnMajorES4_NS_9f8_fnuz_tENS_7pk_i4_tEfDF16_DF16_NS_16tensor_operation12element_wise11PassThroughESA_SA_LNS8_6device18GemmSpecializationE0ELi256ELi256ELi256ELi128ELi16ELi32ELi16ELi16ELi8ELi8ENS_8SequenceIJLi8ELi32ELi1EEEENSD_IJLi1ELi0ELi2EEEESF_Li2ELi16ELi16ELb0ELi0ENSD_IJLi4ELi64ELi1EEEESF_SF_Li2ELi32ELi32ELb0ELi0ELi1ELi1ENSD_IJLi1ELi32ELi1ELi8EEEELi4ELNS_26BlockGemmPipelineSchedulerE0ELNS_24BlockGemmPipelineVersionE2ES6_S6_Lb0ELb0ELi0EEELb1ELNS_25InMemoryDataOperationEnumE1ELi1ELNS_10TailNumberE1EEEvNT_8ArgumentE, .Lfunc_end2-_ZN2ck45kernel_gemm_xdl_cshuffle_v3_b_preshuffle_2ldsINS_41GridwiseGemm_xdl_cshuffle_v3_b_preshuffleINS_13tensor_layout4gemm8RowMajorENS3_11ColumnMajorES4_NS_9f8_fnuz_tENS_7pk_i4_tEfDF16_DF16_NS_16tensor_operation12element_wise11PassThroughESA_SA_LNS8_6device18GemmSpecializationE0ELi256ELi256ELi256ELi128ELi16ELi32ELi16ELi16ELi8ELi8ENS_8SequenceIJLi8ELi32ELi1EEEENSD_IJLi1ELi0ELi2EEEESF_Li2ELi16ELi16ELb0ELi0ENSD_IJLi4ELi64ELi1EEEESF_SF_Li2ELi32ELi32ELb0ELi0ELi1ELi1ENSD_IJLi1ELi32ELi1ELi8EEEELi4ELNS_26BlockGemmPipelineSchedulerE0ELNS_24BlockGemmPipelineVersionE2ES6_S6_Lb0ELb0ELi0EEELb1ELNS_25InMemoryDataOperationEnumE1ELi1ELNS_10TailNumberE1EEEvNT_8ArgumentE
                                        ; -- End function
	.set _ZN2ck45kernel_gemm_xdl_cshuffle_v3_b_preshuffle_2ldsINS_41GridwiseGemm_xdl_cshuffle_v3_b_preshuffleINS_13tensor_layout4gemm8RowMajorENS3_11ColumnMajorES4_NS_9f8_fnuz_tENS_7pk_i4_tEfDF16_DF16_NS_16tensor_operation12element_wise11PassThroughESA_SA_LNS8_6device18GemmSpecializationE0ELi256ELi256ELi256ELi128ELi16ELi32ELi16ELi16ELi8ELi8ENS_8SequenceIJLi8ELi32ELi1EEEENSD_IJLi1ELi0ELi2EEEESF_Li2ELi16ELi16ELb0ELi0ENSD_IJLi4ELi64ELi1EEEESF_SF_Li2ELi32ELi32ELb0ELi0ELi1ELi1ENSD_IJLi1ELi32ELi1ELi8EEEELi4ELNS_26BlockGemmPipelineSchedulerE0ELNS_24BlockGemmPipelineVersionE2ES6_S6_Lb0ELb0ELi0EEELb1ELNS_25InMemoryDataOperationEnumE1ELi1ELNS_10TailNumberE1EEEvNT_8ArgumentE.num_vgpr, 0
	.set _ZN2ck45kernel_gemm_xdl_cshuffle_v3_b_preshuffle_2ldsINS_41GridwiseGemm_xdl_cshuffle_v3_b_preshuffleINS_13tensor_layout4gemm8RowMajorENS3_11ColumnMajorES4_NS_9f8_fnuz_tENS_7pk_i4_tEfDF16_DF16_NS_16tensor_operation12element_wise11PassThroughESA_SA_LNS8_6device18GemmSpecializationE0ELi256ELi256ELi256ELi128ELi16ELi32ELi16ELi16ELi8ELi8ENS_8SequenceIJLi8ELi32ELi1EEEENSD_IJLi1ELi0ELi2EEEESF_Li2ELi16ELi16ELb0ELi0ENSD_IJLi4ELi64ELi1EEEESF_SF_Li2ELi32ELi32ELb0ELi0ELi1ELi1ENSD_IJLi1ELi32ELi1ELi8EEEELi4ELNS_26BlockGemmPipelineSchedulerE0ELNS_24BlockGemmPipelineVersionE2ES6_S6_Lb0ELb0ELi0EEELb1ELNS_25InMemoryDataOperationEnumE1ELi1ELNS_10TailNumberE1EEEvNT_8ArgumentE.num_agpr, 0
	.set _ZN2ck45kernel_gemm_xdl_cshuffle_v3_b_preshuffle_2ldsINS_41GridwiseGemm_xdl_cshuffle_v3_b_preshuffleINS_13tensor_layout4gemm8RowMajorENS3_11ColumnMajorES4_NS_9f8_fnuz_tENS_7pk_i4_tEfDF16_DF16_NS_16tensor_operation12element_wise11PassThroughESA_SA_LNS8_6device18GemmSpecializationE0ELi256ELi256ELi256ELi128ELi16ELi32ELi16ELi16ELi8ELi8ENS_8SequenceIJLi8ELi32ELi1EEEENSD_IJLi1ELi0ELi2EEEESF_Li2ELi16ELi16ELb0ELi0ENSD_IJLi4ELi64ELi1EEEESF_SF_Li2ELi32ELi32ELb0ELi0ELi1ELi1ENSD_IJLi1ELi32ELi1ELi8EEEELi4ELNS_26BlockGemmPipelineSchedulerE0ELNS_24BlockGemmPipelineVersionE2ES6_S6_Lb0ELb0ELi0EEELb1ELNS_25InMemoryDataOperationEnumE1ELi1ELNS_10TailNumberE1EEEvNT_8ArgumentE.numbered_sgpr, 0
	.set _ZN2ck45kernel_gemm_xdl_cshuffle_v3_b_preshuffle_2ldsINS_41GridwiseGemm_xdl_cshuffle_v3_b_preshuffleINS_13tensor_layout4gemm8RowMajorENS3_11ColumnMajorES4_NS_9f8_fnuz_tENS_7pk_i4_tEfDF16_DF16_NS_16tensor_operation12element_wise11PassThroughESA_SA_LNS8_6device18GemmSpecializationE0ELi256ELi256ELi256ELi128ELi16ELi32ELi16ELi16ELi8ELi8ENS_8SequenceIJLi8ELi32ELi1EEEENSD_IJLi1ELi0ELi2EEEESF_Li2ELi16ELi16ELb0ELi0ENSD_IJLi4ELi64ELi1EEEESF_SF_Li2ELi32ELi32ELb0ELi0ELi1ELi1ENSD_IJLi1ELi32ELi1ELi8EEEELi4ELNS_26BlockGemmPipelineSchedulerE0ELNS_24BlockGemmPipelineVersionE2ES6_S6_Lb0ELb0ELi0EEELb1ELNS_25InMemoryDataOperationEnumE1ELi1ELNS_10TailNumberE1EEEvNT_8ArgumentE.num_named_barrier, 0
	.set _ZN2ck45kernel_gemm_xdl_cshuffle_v3_b_preshuffle_2ldsINS_41GridwiseGemm_xdl_cshuffle_v3_b_preshuffleINS_13tensor_layout4gemm8RowMajorENS3_11ColumnMajorES4_NS_9f8_fnuz_tENS_7pk_i4_tEfDF16_DF16_NS_16tensor_operation12element_wise11PassThroughESA_SA_LNS8_6device18GemmSpecializationE0ELi256ELi256ELi256ELi128ELi16ELi32ELi16ELi16ELi8ELi8ENS_8SequenceIJLi8ELi32ELi1EEEENSD_IJLi1ELi0ELi2EEEESF_Li2ELi16ELi16ELb0ELi0ENSD_IJLi4ELi64ELi1EEEESF_SF_Li2ELi32ELi32ELb0ELi0ELi1ELi1ENSD_IJLi1ELi32ELi1ELi8EEEELi4ELNS_26BlockGemmPipelineSchedulerE0ELNS_24BlockGemmPipelineVersionE2ES6_S6_Lb0ELb0ELi0EEELb1ELNS_25InMemoryDataOperationEnumE1ELi1ELNS_10TailNumberE1EEEvNT_8ArgumentE.private_seg_size, 0
	.set _ZN2ck45kernel_gemm_xdl_cshuffle_v3_b_preshuffle_2ldsINS_41GridwiseGemm_xdl_cshuffle_v3_b_preshuffleINS_13tensor_layout4gemm8RowMajorENS3_11ColumnMajorES4_NS_9f8_fnuz_tENS_7pk_i4_tEfDF16_DF16_NS_16tensor_operation12element_wise11PassThroughESA_SA_LNS8_6device18GemmSpecializationE0ELi256ELi256ELi256ELi128ELi16ELi32ELi16ELi16ELi8ELi8ENS_8SequenceIJLi8ELi32ELi1EEEENSD_IJLi1ELi0ELi2EEEESF_Li2ELi16ELi16ELb0ELi0ENSD_IJLi4ELi64ELi1EEEESF_SF_Li2ELi32ELi32ELb0ELi0ELi1ELi1ENSD_IJLi1ELi32ELi1ELi8EEEELi4ELNS_26BlockGemmPipelineSchedulerE0ELNS_24BlockGemmPipelineVersionE2ES6_S6_Lb0ELb0ELi0EEELb1ELNS_25InMemoryDataOperationEnumE1ELi1ELNS_10TailNumberE1EEEvNT_8ArgumentE.uses_vcc, 0
	.set _ZN2ck45kernel_gemm_xdl_cshuffle_v3_b_preshuffle_2ldsINS_41GridwiseGemm_xdl_cshuffle_v3_b_preshuffleINS_13tensor_layout4gemm8RowMajorENS3_11ColumnMajorES4_NS_9f8_fnuz_tENS_7pk_i4_tEfDF16_DF16_NS_16tensor_operation12element_wise11PassThroughESA_SA_LNS8_6device18GemmSpecializationE0ELi256ELi256ELi256ELi128ELi16ELi32ELi16ELi16ELi8ELi8ENS_8SequenceIJLi8ELi32ELi1EEEENSD_IJLi1ELi0ELi2EEEESF_Li2ELi16ELi16ELb0ELi0ENSD_IJLi4ELi64ELi1EEEESF_SF_Li2ELi32ELi32ELb0ELi0ELi1ELi1ENSD_IJLi1ELi32ELi1ELi8EEEELi4ELNS_26BlockGemmPipelineSchedulerE0ELNS_24BlockGemmPipelineVersionE2ES6_S6_Lb0ELb0ELi0EEELb1ELNS_25InMemoryDataOperationEnumE1ELi1ELNS_10TailNumberE1EEEvNT_8ArgumentE.uses_flat_scratch, 0
	.set _ZN2ck45kernel_gemm_xdl_cshuffle_v3_b_preshuffle_2ldsINS_41GridwiseGemm_xdl_cshuffle_v3_b_preshuffleINS_13tensor_layout4gemm8RowMajorENS3_11ColumnMajorES4_NS_9f8_fnuz_tENS_7pk_i4_tEfDF16_DF16_NS_16tensor_operation12element_wise11PassThroughESA_SA_LNS8_6device18GemmSpecializationE0ELi256ELi256ELi256ELi128ELi16ELi32ELi16ELi16ELi8ELi8ENS_8SequenceIJLi8ELi32ELi1EEEENSD_IJLi1ELi0ELi2EEEESF_Li2ELi16ELi16ELb0ELi0ENSD_IJLi4ELi64ELi1EEEESF_SF_Li2ELi32ELi32ELb0ELi0ELi1ELi1ENSD_IJLi1ELi32ELi1ELi8EEEELi4ELNS_26BlockGemmPipelineSchedulerE0ELNS_24BlockGemmPipelineVersionE2ES6_S6_Lb0ELb0ELi0EEELb1ELNS_25InMemoryDataOperationEnumE1ELi1ELNS_10TailNumberE1EEEvNT_8ArgumentE.has_dyn_sized_stack, 0
	.set _ZN2ck45kernel_gemm_xdl_cshuffle_v3_b_preshuffle_2ldsINS_41GridwiseGemm_xdl_cshuffle_v3_b_preshuffleINS_13tensor_layout4gemm8RowMajorENS3_11ColumnMajorES4_NS_9f8_fnuz_tENS_7pk_i4_tEfDF16_DF16_NS_16tensor_operation12element_wise11PassThroughESA_SA_LNS8_6device18GemmSpecializationE0ELi256ELi256ELi256ELi128ELi16ELi32ELi16ELi16ELi8ELi8ENS_8SequenceIJLi8ELi32ELi1EEEENSD_IJLi1ELi0ELi2EEEESF_Li2ELi16ELi16ELb0ELi0ENSD_IJLi4ELi64ELi1EEEESF_SF_Li2ELi32ELi32ELb0ELi0ELi1ELi1ENSD_IJLi1ELi32ELi1ELi8EEEELi4ELNS_26BlockGemmPipelineSchedulerE0ELNS_24BlockGemmPipelineVersionE2ES6_S6_Lb0ELb0ELi0EEELb1ELNS_25InMemoryDataOperationEnumE1ELi1ELNS_10TailNumberE1EEEvNT_8ArgumentE.has_recursion, 0
	.set _ZN2ck45kernel_gemm_xdl_cshuffle_v3_b_preshuffle_2ldsINS_41GridwiseGemm_xdl_cshuffle_v3_b_preshuffleINS_13tensor_layout4gemm8RowMajorENS3_11ColumnMajorES4_NS_9f8_fnuz_tENS_7pk_i4_tEfDF16_DF16_NS_16tensor_operation12element_wise11PassThroughESA_SA_LNS8_6device18GemmSpecializationE0ELi256ELi256ELi256ELi128ELi16ELi32ELi16ELi16ELi8ELi8ENS_8SequenceIJLi8ELi32ELi1EEEENSD_IJLi1ELi0ELi2EEEESF_Li2ELi16ELi16ELb0ELi0ENSD_IJLi4ELi64ELi1EEEESF_SF_Li2ELi32ELi32ELb0ELi0ELi1ELi1ENSD_IJLi1ELi32ELi1ELi8EEEELi4ELNS_26BlockGemmPipelineSchedulerE0ELNS_24BlockGemmPipelineVersionE2ES6_S6_Lb0ELb0ELi0EEELb1ELNS_25InMemoryDataOperationEnumE1ELi1ELNS_10TailNumberE1EEEvNT_8ArgumentE.has_indirect_call, 0
	.section	.AMDGPU.csdata,"",@progbits
; Kernel info:
; codeLenInByte = 4
; TotalNumSgprs: 0
; NumVgprs: 0
; ScratchSize: 0
; MemoryBound: 0
; FloatMode: 240
; IeeeMode: 1
; LDSByteSize: 0 bytes/workgroup (compile time only)
; SGPRBlocks: 0
; VGPRBlocks: 0
; NumSGPRsForWavesPerEU: 1
; NumVGPRsForWavesPerEU: 1
; Occupancy: 16
; WaveLimiterHint : 0
; COMPUTE_PGM_RSRC2:SCRATCH_EN: 0
; COMPUTE_PGM_RSRC2:USER_SGPR: 2
; COMPUTE_PGM_RSRC2:TRAP_HANDLER: 0
; COMPUTE_PGM_RSRC2:TGID_X_EN: 1
; COMPUTE_PGM_RSRC2:TGID_Y_EN: 0
; COMPUTE_PGM_RSRC2:TGID_Z_EN: 0
; COMPUTE_PGM_RSRC2:TIDIG_COMP_CNT: 0
	.section	.text._ZN2ck45kernel_gemm_xdl_cshuffle_v3_b_preshuffle_2ldsINS_41GridwiseGemm_xdl_cshuffle_v3_b_preshuffleINS_13tensor_layout4gemm8RowMajorENS3_11ColumnMajorES4_NS_9f8_fnuz_tENS_7pk_i4_tEfDF16_DF16_NS_16tensor_operation12element_wise11PassThroughESA_SA_LNS8_6device18GemmSpecializationE0ELi256ELi256ELi256ELi128ELi16ELi32ELi16ELi16ELi8ELi8ENS_8SequenceIJLi8ELi32ELi1EEEENSD_IJLi1ELi0ELi2EEEESF_Li2ELi16ELi16ELb0ELi0ENSD_IJLi4ELi64ELi1EEEESF_SF_Li2ELi32ELi32ELb0ELi0ELi1ELi1ENSD_IJLi1ELi32ELi1ELi8EEEELi4ELNS_26BlockGemmPipelineSchedulerE0ELNS_24BlockGemmPipelineVersionE2ES6_S6_Lb0ELb0ELi0EEELb1ELNS_25InMemoryDataOperationEnumE0ELi1ELNS_10TailNumberE0EEEvNT_8ArgumentE,"axG",@progbits,_ZN2ck45kernel_gemm_xdl_cshuffle_v3_b_preshuffle_2ldsINS_41GridwiseGemm_xdl_cshuffle_v3_b_preshuffleINS_13tensor_layout4gemm8RowMajorENS3_11ColumnMajorES4_NS_9f8_fnuz_tENS_7pk_i4_tEfDF16_DF16_NS_16tensor_operation12element_wise11PassThroughESA_SA_LNS8_6device18GemmSpecializationE0ELi256ELi256ELi256ELi128ELi16ELi32ELi16ELi16ELi8ELi8ENS_8SequenceIJLi8ELi32ELi1EEEENSD_IJLi1ELi0ELi2EEEESF_Li2ELi16ELi16ELb0ELi0ENSD_IJLi4ELi64ELi1EEEESF_SF_Li2ELi32ELi32ELb0ELi0ELi1ELi1ENSD_IJLi1ELi32ELi1ELi8EEEELi4ELNS_26BlockGemmPipelineSchedulerE0ELNS_24BlockGemmPipelineVersionE2ES6_S6_Lb0ELb0ELi0EEELb1ELNS_25InMemoryDataOperationEnumE0ELi1ELNS_10TailNumberE0EEEvNT_8ArgumentE,comdat
	.protected	_ZN2ck45kernel_gemm_xdl_cshuffle_v3_b_preshuffle_2ldsINS_41GridwiseGemm_xdl_cshuffle_v3_b_preshuffleINS_13tensor_layout4gemm8RowMajorENS3_11ColumnMajorES4_NS_9f8_fnuz_tENS_7pk_i4_tEfDF16_DF16_NS_16tensor_operation12element_wise11PassThroughESA_SA_LNS8_6device18GemmSpecializationE0ELi256ELi256ELi256ELi128ELi16ELi32ELi16ELi16ELi8ELi8ENS_8SequenceIJLi8ELi32ELi1EEEENSD_IJLi1ELi0ELi2EEEESF_Li2ELi16ELi16ELb0ELi0ENSD_IJLi4ELi64ELi1EEEESF_SF_Li2ELi32ELi32ELb0ELi0ELi1ELi1ENSD_IJLi1ELi32ELi1ELi8EEEELi4ELNS_26BlockGemmPipelineSchedulerE0ELNS_24BlockGemmPipelineVersionE2ES6_S6_Lb0ELb0ELi0EEELb1ELNS_25InMemoryDataOperationEnumE0ELi1ELNS_10TailNumberE0EEEvNT_8ArgumentE ; -- Begin function _ZN2ck45kernel_gemm_xdl_cshuffle_v3_b_preshuffle_2ldsINS_41GridwiseGemm_xdl_cshuffle_v3_b_preshuffleINS_13tensor_layout4gemm8RowMajorENS3_11ColumnMajorES4_NS_9f8_fnuz_tENS_7pk_i4_tEfDF16_DF16_NS_16tensor_operation12element_wise11PassThroughESA_SA_LNS8_6device18GemmSpecializationE0ELi256ELi256ELi256ELi128ELi16ELi32ELi16ELi16ELi8ELi8ENS_8SequenceIJLi8ELi32ELi1EEEENSD_IJLi1ELi0ELi2EEEESF_Li2ELi16ELi16ELb0ELi0ENSD_IJLi4ELi64ELi1EEEESF_SF_Li2ELi32ELi32ELb0ELi0ELi1ELi1ENSD_IJLi1ELi32ELi1ELi8EEEELi4ELNS_26BlockGemmPipelineSchedulerE0ELNS_24BlockGemmPipelineVersionE2ES6_S6_Lb0ELb0ELi0EEELb1ELNS_25InMemoryDataOperationEnumE0ELi1ELNS_10TailNumberE0EEEvNT_8ArgumentE
	.globl	_ZN2ck45kernel_gemm_xdl_cshuffle_v3_b_preshuffle_2ldsINS_41GridwiseGemm_xdl_cshuffle_v3_b_preshuffleINS_13tensor_layout4gemm8RowMajorENS3_11ColumnMajorES4_NS_9f8_fnuz_tENS_7pk_i4_tEfDF16_DF16_NS_16tensor_operation12element_wise11PassThroughESA_SA_LNS8_6device18GemmSpecializationE0ELi256ELi256ELi256ELi128ELi16ELi32ELi16ELi16ELi8ELi8ENS_8SequenceIJLi8ELi32ELi1EEEENSD_IJLi1ELi0ELi2EEEESF_Li2ELi16ELi16ELb0ELi0ENSD_IJLi4ELi64ELi1EEEESF_SF_Li2ELi32ELi32ELb0ELi0ELi1ELi1ENSD_IJLi1ELi32ELi1ELi8EEEELi4ELNS_26BlockGemmPipelineSchedulerE0ELNS_24BlockGemmPipelineVersionE2ES6_S6_Lb0ELb0ELi0EEELb1ELNS_25InMemoryDataOperationEnumE0ELi1ELNS_10TailNumberE0EEEvNT_8ArgumentE
	.p2align	8
	.type	_ZN2ck45kernel_gemm_xdl_cshuffle_v3_b_preshuffle_2ldsINS_41GridwiseGemm_xdl_cshuffle_v3_b_preshuffleINS_13tensor_layout4gemm8RowMajorENS3_11ColumnMajorES4_NS_9f8_fnuz_tENS_7pk_i4_tEfDF16_DF16_NS_16tensor_operation12element_wise11PassThroughESA_SA_LNS8_6device18GemmSpecializationE0ELi256ELi256ELi256ELi128ELi16ELi32ELi16ELi16ELi8ELi8ENS_8SequenceIJLi8ELi32ELi1EEEENSD_IJLi1ELi0ELi2EEEESF_Li2ELi16ELi16ELb0ELi0ENSD_IJLi4ELi64ELi1EEEESF_SF_Li2ELi32ELi32ELb0ELi0ELi1ELi1ENSD_IJLi1ELi32ELi1ELi8EEEELi4ELNS_26BlockGemmPipelineSchedulerE0ELNS_24BlockGemmPipelineVersionE2ES6_S6_Lb0ELb0ELi0EEELb1ELNS_25InMemoryDataOperationEnumE0ELi1ELNS_10TailNumberE0EEEvNT_8ArgumentE,@function
_ZN2ck45kernel_gemm_xdl_cshuffle_v3_b_preshuffle_2ldsINS_41GridwiseGemm_xdl_cshuffle_v3_b_preshuffleINS_13tensor_layout4gemm8RowMajorENS3_11ColumnMajorES4_NS_9f8_fnuz_tENS_7pk_i4_tEfDF16_DF16_NS_16tensor_operation12element_wise11PassThroughESA_SA_LNS8_6device18GemmSpecializationE0ELi256ELi256ELi256ELi128ELi16ELi32ELi16ELi16ELi8ELi8ENS_8SequenceIJLi8ELi32ELi1EEEENSD_IJLi1ELi0ELi2EEEESF_Li2ELi16ELi16ELb0ELi0ENSD_IJLi4ELi64ELi1EEEESF_SF_Li2ELi32ELi32ELb0ELi0ELi1ELi1ENSD_IJLi1ELi32ELi1ELi8EEEELi4ELNS_26BlockGemmPipelineSchedulerE0ELNS_24BlockGemmPipelineVersionE2ES6_S6_Lb0ELb0ELi0EEELb1ELNS_25InMemoryDataOperationEnumE0ELi1ELNS_10TailNumberE0EEEvNT_8ArgumentE: ; @_ZN2ck45kernel_gemm_xdl_cshuffle_v3_b_preshuffle_2ldsINS_41GridwiseGemm_xdl_cshuffle_v3_b_preshuffleINS_13tensor_layout4gemm8RowMajorENS3_11ColumnMajorES4_NS_9f8_fnuz_tENS_7pk_i4_tEfDF16_DF16_NS_16tensor_operation12element_wise11PassThroughESA_SA_LNS8_6device18GemmSpecializationE0ELi256ELi256ELi256ELi128ELi16ELi32ELi16ELi16ELi8ELi8ENS_8SequenceIJLi8ELi32ELi1EEEENSD_IJLi1ELi0ELi2EEEESF_Li2ELi16ELi16ELb0ELi0ENSD_IJLi4ELi64ELi1EEEESF_SF_Li2ELi32ELi32ELb0ELi0ELi1ELi1ENSD_IJLi1ELi32ELi1ELi8EEEELi4ELNS_26BlockGemmPipelineSchedulerE0ELNS_24BlockGemmPipelineVersionE2ES6_S6_Lb0ELb0ELi0EEELb1ELNS_25InMemoryDataOperationEnumE0ELi1ELNS_10TailNumberE0EEEvNT_8ArgumentE
; %bb.0:
	s_endpgm
	.section	.rodata,"a",@progbits
	.p2align	6, 0x0
	.amdhsa_kernel _ZN2ck45kernel_gemm_xdl_cshuffle_v3_b_preshuffle_2ldsINS_41GridwiseGemm_xdl_cshuffle_v3_b_preshuffleINS_13tensor_layout4gemm8RowMajorENS3_11ColumnMajorES4_NS_9f8_fnuz_tENS_7pk_i4_tEfDF16_DF16_NS_16tensor_operation12element_wise11PassThroughESA_SA_LNS8_6device18GemmSpecializationE0ELi256ELi256ELi256ELi128ELi16ELi32ELi16ELi16ELi8ELi8ENS_8SequenceIJLi8ELi32ELi1EEEENSD_IJLi1ELi0ELi2EEEESF_Li2ELi16ELi16ELb0ELi0ENSD_IJLi4ELi64ELi1EEEESF_SF_Li2ELi32ELi32ELb0ELi0ELi1ELi1ENSD_IJLi1ELi32ELi1ELi8EEEELi4ELNS_26BlockGemmPipelineSchedulerE0ELNS_24BlockGemmPipelineVersionE2ES6_S6_Lb0ELb0ELi0EEELb1ELNS_25InMemoryDataOperationEnumE0ELi1ELNS_10TailNumberE0EEEvNT_8ArgumentE
		.amdhsa_group_segment_fixed_size 0
		.amdhsa_private_segment_fixed_size 0
		.amdhsa_kernarg_size 112
		.amdhsa_user_sgpr_count 2
		.amdhsa_user_sgpr_dispatch_ptr 0
		.amdhsa_user_sgpr_queue_ptr 0
		.amdhsa_user_sgpr_kernarg_segment_ptr 1
		.amdhsa_user_sgpr_dispatch_id 0
		.amdhsa_user_sgpr_private_segment_size 0
		.amdhsa_wavefront_size32 1
		.amdhsa_uses_dynamic_stack 0
		.amdhsa_enable_private_segment 0
		.amdhsa_system_sgpr_workgroup_id_x 1
		.amdhsa_system_sgpr_workgroup_id_y 0
		.amdhsa_system_sgpr_workgroup_id_z 0
		.amdhsa_system_sgpr_workgroup_info 0
		.amdhsa_system_vgpr_workitem_id 0
		.amdhsa_next_free_vgpr 1
		.amdhsa_next_free_sgpr 1
		.amdhsa_reserve_vcc 0
		.amdhsa_float_round_mode_32 0
		.amdhsa_float_round_mode_16_64 0
		.amdhsa_float_denorm_mode_32 3
		.amdhsa_float_denorm_mode_16_64 3
		.amdhsa_fp16_overflow 0
		.amdhsa_workgroup_processor_mode 1
		.amdhsa_memory_ordered 1
		.amdhsa_forward_progress 1
		.amdhsa_inst_pref_size 1
		.amdhsa_round_robin_scheduling 0
		.amdhsa_exception_fp_ieee_invalid_op 0
		.amdhsa_exception_fp_denorm_src 0
		.amdhsa_exception_fp_ieee_div_zero 0
		.amdhsa_exception_fp_ieee_overflow 0
		.amdhsa_exception_fp_ieee_underflow 0
		.amdhsa_exception_fp_ieee_inexact 0
		.amdhsa_exception_int_div_zero 0
	.end_amdhsa_kernel
	.section	.text._ZN2ck45kernel_gemm_xdl_cshuffle_v3_b_preshuffle_2ldsINS_41GridwiseGemm_xdl_cshuffle_v3_b_preshuffleINS_13tensor_layout4gemm8RowMajorENS3_11ColumnMajorES4_NS_9f8_fnuz_tENS_7pk_i4_tEfDF16_DF16_NS_16tensor_operation12element_wise11PassThroughESA_SA_LNS8_6device18GemmSpecializationE0ELi256ELi256ELi256ELi128ELi16ELi32ELi16ELi16ELi8ELi8ENS_8SequenceIJLi8ELi32ELi1EEEENSD_IJLi1ELi0ELi2EEEESF_Li2ELi16ELi16ELb0ELi0ENSD_IJLi4ELi64ELi1EEEESF_SF_Li2ELi32ELi32ELb0ELi0ELi1ELi1ENSD_IJLi1ELi32ELi1ELi8EEEELi4ELNS_26BlockGemmPipelineSchedulerE0ELNS_24BlockGemmPipelineVersionE2ES6_S6_Lb0ELb0ELi0EEELb1ELNS_25InMemoryDataOperationEnumE0ELi1ELNS_10TailNumberE0EEEvNT_8ArgumentE,"axG",@progbits,_ZN2ck45kernel_gemm_xdl_cshuffle_v3_b_preshuffle_2ldsINS_41GridwiseGemm_xdl_cshuffle_v3_b_preshuffleINS_13tensor_layout4gemm8RowMajorENS3_11ColumnMajorES4_NS_9f8_fnuz_tENS_7pk_i4_tEfDF16_DF16_NS_16tensor_operation12element_wise11PassThroughESA_SA_LNS8_6device18GemmSpecializationE0ELi256ELi256ELi256ELi128ELi16ELi32ELi16ELi16ELi8ELi8ENS_8SequenceIJLi8ELi32ELi1EEEENSD_IJLi1ELi0ELi2EEEESF_Li2ELi16ELi16ELb0ELi0ENSD_IJLi4ELi64ELi1EEEESF_SF_Li2ELi32ELi32ELb0ELi0ELi1ELi1ENSD_IJLi1ELi32ELi1ELi8EEEELi4ELNS_26BlockGemmPipelineSchedulerE0ELNS_24BlockGemmPipelineVersionE2ES6_S6_Lb0ELb0ELi0EEELb1ELNS_25InMemoryDataOperationEnumE0ELi1ELNS_10TailNumberE0EEEvNT_8ArgumentE,comdat
.Lfunc_end3:
	.size	_ZN2ck45kernel_gemm_xdl_cshuffle_v3_b_preshuffle_2ldsINS_41GridwiseGemm_xdl_cshuffle_v3_b_preshuffleINS_13tensor_layout4gemm8RowMajorENS3_11ColumnMajorES4_NS_9f8_fnuz_tENS_7pk_i4_tEfDF16_DF16_NS_16tensor_operation12element_wise11PassThroughESA_SA_LNS8_6device18GemmSpecializationE0ELi256ELi256ELi256ELi128ELi16ELi32ELi16ELi16ELi8ELi8ENS_8SequenceIJLi8ELi32ELi1EEEENSD_IJLi1ELi0ELi2EEEESF_Li2ELi16ELi16ELb0ELi0ENSD_IJLi4ELi64ELi1EEEESF_SF_Li2ELi32ELi32ELb0ELi0ELi1ELi1ENSD_IJLi1ELi32ELi1ELi8EEEELi4ELNS_26BlockGemmPipelineSchedulerE0ELNS_24BlockGemmPipelineVersionE2ES6_S6_Lb0ELb0ELi0EEELb1ELNS_25InMemoryDataOperationEnumE0ELi1ELNS_10TailNumberE0EEEvNT_8ArgumentE, .Lfunc_end3-_ZN2ck45kernel_gemm_xdl_cshuffle_v3_b_preshuffle_2ldsINS_41GridwiseGemm_xdl_cshuffle_v3_b_preshuffleINS_13tensor_layout4gemm8RowMajorENS3_11ColumnMajorES4_NS_9f8_fnuz_tENS_7pk_i4_tEfDF16_DF16_NS_16tensor_operation12element_wise11PassThroughESA_SA_LNS8_6device18GemmSpecializationE0ELi256ELi256ELi256ELi128ELi16ELi32ELi16ELi16ELi8ELi8ENS_8SequenceIJLi8ELi32ELi1EEEENSD_IJLi1ELi0ELi2EEEESF_Li2ELi16ELi16ELb0ELi0ENSD_IJLi4ELi64ELi1EEEESF_SF_Li2ELi32ELi32ELb0ELi0ELi1ELi1ENSD_IJLi1ELi32ELi1ELi8EEEELi4ELNS_26BlockGemmPipelineSchedulerE0ELNS_24BlockGemmPipelineVersionE2ES6_S6_Lb0ELb0ELi0EEELb1ELNS_25InMemoryDataOperationEnumE0ELi1ELNS_10TailNumberE0EEEvNT_8ArgumentE
                                        ; -- End function
	.set _ZN2ck45kernel_gemm_xdl_cshuffle_v3_b_preshuffle_2ldsINS_41GridwiseGemm_xdl_cshuffle_v3_b_preshuffleINS_13tensor_layout4gemm8RowMajorENS3_11ColumnMajorES4_NS_9f8_fnuz_tENS_7pk_i4_tEfDF16_DF16_NS_16tensor_operation12element_wise11PassThroughESA_SA_LNS8_6device18GemmSpecializationE0ELi256ELi256ELi256ELi128ELi16ELi32ELi16ELi16ELi8ELi8ENS_8SequenceIJLi8ELi32ELi1EEEENSD_IJLi1ELi0ELi2EEEESF_Li2ELi16ELi16ELb0ELi0ENSD_IJLi4ELi64ELi1EEEESF_SF_Li2ELi32ELi32ELb0ELi0ELi1ELi1ENSD_IJLi1ELi32ELi1ELi8EEEELi4ELNS_26BlockGemmPipelineSchedulerE0ELNS_24BlockGemmPipelineVersionE2ES6_S6_Lb0ELb0ELi0EEELb1ELNS_25InMemoryDataOperationEnumE0ELi1ELNS_10TailNumberE0EEEvNT_8ArgumentE.num_vgpr, 0
	.set _ZN2ck45kernel_gemm_xdl_cshuffle_v3_b_preshuffle_2ldsINS_41GridwiseGemm_xdl_cshuffle_v3_b_preshuffleINS_13tensor_layout4gemm8RowMajorENS3_11ColumnMajorES4_NS_9f8_fnuz_tENS_7pk_i4_tEfDF16_DF16_NS_16tensor_operation12element_wise11PassThroughESA_SA_LNS8_6device18GemmSpecializationE0ELi256ELi256ELi256ELi128ELi16ELi32ELi16ELi16ELi8ELi8ENS_8SequenceIJLi8ELi32ELi1EEEENSD_IJLi1ELi0ELi2EEEESF_Li2ELi16ELi16ELb0ELi0ENSD_IJLi4ELi64ELi1EEEESF_SF_Li2ELi32ELi32ELb0ELi0ELi1ELi1ENSD_IJLi1ELi32ELi1ELi8EEEELi4ELNS_26BlockGemmPipelineSchedulerE0ELNS_24BlockGemmPipelineVersionE2ES6_S6_Lb0ELb0ELi0EEELb1ELNS_25InMemoryDataOperationEnumE0ELi1ELNS_10TailNumberE0EEEvNT_8ArgumentE.num_agpr, 0
	.set _ZN2ck45kernel_gemm_xdl_cshuffle_v3_b_preshuffle_2ldsINS_41GridwiseGemm_xdl_cshuffle_v3_b_preshuffleINS_13tensor_layout4gemm8RowMajorENS3_11ColumnMajorES4_NS_9f8_fnuz_tENS_7pk_i4_tEfDF16_DF16_NS_16tensor_operation12element_wise11PassThroughESA_SA_LNS8_6device18GemmSpecializationE0ELi256ELi256ELi256ELi128ELi16ELi32ELi16ELi16ELi8ELi8ENS_8SequenceIJLi8ELi32ELi1EEEENSD_IJLi1ELi0ELi2EEEESF_Li2ELi16ELi16ELb0ELi0ENSD_IJLi4ELi64ELi1EEEESF_SF_Li2ELi32ELi32ELb0ELi0ELi1ELi1ENSD_IJLi1ELi32ELi1ELi8EEEELi4ELNS_26BlockGemmPipelineSchedulerE0ELNS_24BlockGemmPipelineVersionE2ES6_S6_Lb0ELb0ELi0EEELb1ELNS_25InMemoryDataOperationEnumE0ELi1ELNS_10TailNumberE0EEEvNT_8ArgumentE.numbered_sgpr, 0
	.set _ZN2ck45kernel_gemm_xdl_cshuffle_v3_b_preshuffle_2ldsINS_41GridwiseGemm_xdl_cshuffle_v3_b_preshuffleINS_13tensor_layout4gemm8RowMajorENS3_11ColumnMajorES4_NS_9f8_fnuz_tENS_7pk_i4_tEfDF16_DF16_NS_16tensor_operation12element_wise11PassThroughESA_SA_LNS8_6device18GemmSpecializationE0ELi256ELi256ELi256ELi128ELi16ELi32ELi16ELi16ELi8ELi8ENS_8SequenceIJLi8ELi32ELi1EEEENSD_IJLi1ELi0ELi2EEEESF_Li2ELi16ELi16ELb0ELi0ENSD_IJLi4ELi64ELi1EEEESF_SF_Li2ELi32ELi32ELb0ELi0ELi1ELi1ENSD_IJLi1ELi32ELi1ELi8EEEELi4ELNS_26BlockGemmPipelineSchedulerE0ELNS_24BlockGemmPipelineVersionE2ES6_S6_Lb0ELb0ELi0EEELb1ELNS_25InMemoryDataOperationEnumE0ELi1ELNS_10TailNumberE0EEEvNT_8ArgumentE.num_named_barrier, 0
	.set _ZN2ck45kernel_gemm_xdl_cshuffle_v3_b_preshuffle_2ldsINS_41GridwiseGemm_xdl_cshuffle_v3_b_preshuffleINS_13tensor_layout4gemm8RowMajorENS3_11ColumnMajorES4_NS_9f8_fnuz_tENS_7pk_i4_tEfDF16_DF16_NS_16tensor_operation12element_wise11PassThroughESA_SA_LNS8_6device18GemmSpecializationE0ELi256ELi256ELi256ELi128ELi16ELi32ELi16ELi16ELi8ELi8ENS_8SequenceIJLi8ELi32ELi1EEEENSD_IJLi1ELi0ELi2EEEESF_Li2ELi16ELi16ELb0ELi0ENSD_IJLi4ELi64ELi1EEEESF_SF_Li2ELi32ELi32ELb0ELi0ELi1ELi1ENSD_IJLi1ELi32ELi1ELi8EEEELi4ELNS_26BlockGemmPipelineSchedulerE0ELNS_24BlockGemmPipelineVersionE2ES6_S6_Lb0ELb0ELi0EEELb1ELNS_25InMemoryDataOperationEnumE0ELi1ELNS_10TailNumberE0EEEvNT_8ArgumentE.private_seg_size, 0
	.set _ZN2ck45kernel_gemm_xdl_cshuffle_v3_b_preshuffle_2ldsINS_41GridwiseGemm_xdl_cshuffle_v3_b_preshuffleINS_13tensor_layout4gemm8RowMajorENS3_11ColumnMajorES4_NS_9f8_fnuz_tENS_7pk_i4_tEfDF16_DF16_NS_16tensor_operation12element_wise11PassThroughESA_SA_LNS8_6device18GemmSpecializationE0ELi256ELi256ELi256ELi128ELi16ELi32ELi16ELi16ELi8ELi8ENS_8SequenceIJLi8ELi32ELi1EEEENSD_IJLi1ELi0ELi2EEEESF_Li2ELi16ELi16ELb0ELi0ENSD_IJLi4ELi64ELi1EEEESF_SF_Li2ELi32ELi32ELb0ELi0ELi1ELi1ENSD_IJLi1ELi32ELi1ELi8EEEELi4ELNS_26BlockGemmPipelineSchedulerE0ELNS_24BlockGemmPipelineVersionE2ES6_S6_Lb0ELb0ELi0EEELb1ELNS_25InMemoryDataOperationEnumE0ELi1ELNS_10TailNumberE0EEEvNT_8ArgumentE.uses_vcc, 0
	.set _ZN2ck45kernel_gemm_xdl_cshuffle_v3_b_preshuffle_2ldsINS_41GridwiseGemm_xdl_cshuffle_v3_b_preshuffleINS_13tensor_layout4gemm8RowMajorENS3_11ColumnMajorES4_NS_9f8_fnuz_tENS_7pk_i4_tEfDF16_DF16_NS_16tensor_operation12element_wise11PassThroughESA_SA_LNS8_6device18GemmSpecializationE0ELi256ELi256ELi256ELi128ELi16ELi32ELi16ELi16ELi8ELi8ENS_8SequenceIJLi8ELi32ELi1EEEENSD_IJLi1ELi0ELi2EEEESF_Li2ELi16ELi16ELb0ELi0ENSD_IJLi4ELi64ELi1EEEESF_SF_Li2ELi32ELi32ELb0ELi0ELi1ELi1ENSD_IJLi1ELi32ELi1ELi8EEEELi4ELNS_26BlockGemmPipelineSchedulerE0ELNS_24BlockGemmPipelineVersionE2ES6_S6_Lb0ELb0ELi0EEELb1ELNS_25InMemoryDataOperationEnumE0ELi1ELNS_10TailNumberE0EEEvNT_8ArgumentE.uses_flat_scratch, 0
	.set _ZN2ck45kernel_gemm_xdl_cshuffle_v3_b_preshuffle_2ldsINS_41GridwiseGemm_xdl_cshuffle_v3_b_preshuffleINS_13tensor_layout4gemm8RowMajorENS3_11ColumnMajorES4_NS_9f8_fnuz_tENS_7pk_i4_tEfDF16_DF16_NS_16tensor_operation12element_wise11PassThroughESA_SA_LNS8_6device18GemmSpecializationE0ELi256ELi256ELi256ELi128ELi16ELi32ELi16ELi16ELi8ELi8ENS_8SequenceIJLi8ELi32ELi1EEEENSD_IJLi1ELi0ELi2EEEESF_Li2ELi16ELi16ELb0ELi0ENSD_IJLi4ELi64ELi1EEEESF_SF_Li2ELi32ELi32ELb0ELi0ELi1ELi1ENSD_IJLi1ELi32ELi1ELi8EEEELi4ELNS_26BlockGemmPipelineSchedulerE0ELNS_24BlockGemmPipelineVersionE2ES6_S6_Lb0ELb0ELi0EEELb1ELNS_25InMemoryDataOperationEnumE0ELi1ELNS_10TailNumberE0EEEvNT_8ArgumentE.has_dyn_sized_stack, 0
	.set _ZN2ck45kernel_gemm_xdl_cshuffle_v3_b_preshuffle_2ldsINS_41GridwiseGemm_xdl_cshuffle_v3_b_preshuffleINS_13tensor_layout4gemm8RowMajorENS3_11ColumnMajorES4_NS_9f8_fnuz_tENS_7pk_i4_tEfDF16_DF16_NS_16tensor_operation12element_wise11PassThroughESA_SA_LNS8_6device18GemmSpecializationE0ELi256ELi256ELi256ELi128ELi16ELi32ELi16ELi16ELi8ELi8ENS_8SequenceIJLi8ELi32ELi1EEEENSD_IJLi1ELi0ELi2EEEESF_Li2ELi16ELi16ELb0ELi0ENSD_IJLi4ELi64ELi1EEEESF_SF_Li2ELi32ELi32ELb0ELi0ELi1ELi1ENSD_IJLi1ELi32ELi1ELi8EEEELi4ELNS_26BlockGemmPipelineSchedulerE0ELNS_24BlockGemmPipelineVersionE2ES6_S6_Lb0ELb0ELi0EEELb1ELNS_25InMemoryDataOperationEnumE0ELi1ELNS_10TailNumberE0EEEvNT_8ArgumentE.has_recursion, 0
	.set _ZN2ck45kernel_gemm_xdl_cshuffle_v3_b_preshuffle_2ldsINS_41GridwiseGemm_xdl_cshuffle_v3_b_preshuffleINS_13tensor_layout4gemm8RowMajorENS3_11ColumnMajorES4_NS_9f8_fnuz_tENS_7pk_i4_tEfDF16_DF16_NS_16tensor_operation12element_wise11PassThroughESA_SA_LNS8_6device18GemmSpecializationE0ELi256ELi256ELi256ELi128ELi16ELi32ELi16ELi16ELi8ELi8ENS_8SequenceIJLi8ELi32ELi1EEEENSD_IJLi1ELi0ELi2EEEESF_Li2ELi16ELi16ELb0ELi0ENSD_IJLi4ELi64ELi1EEEESF_SF_Li2ELi32ELi32ELb0ELi0ELi1ELi1ENSD_IJLi1ELi32ELi1ELi8EEEELi4ELNS_26BlockGemmPipelineSchedulerE0ELNS_24BlockGemmPipelineVersionE2ES6_S6_Lb0ELb0ELi0EEELb1ELNS_25InMemoryDataOperationEnumE0ELi1ELNS_10TailNumberE0EEEvNT_8ArgumentE.has_indirect_call, 0
	.section	.AMDGPU.csdata,"",@progbits
; Kernel info:
; codeLenInByte = 4
; TotalNumSgprs: 0
; NumVgprs: 0
; ScratchSize: 0
; MemoryBound: 0
; FloatMode: 240
; IeeeMode: 1
; LDSByteSize: 0 bytes/workgroup (compile time only)
; SGPRBlocks: 0
; VGPRBlocks: 0
; NumSGPRsForWavesPerEU: 1
; NumVGPRsForWavesPerEU: 1
; Occupancy: 16
; WaveLimiterHint : 0
; COMPUTE_PGM_RSRC2:SCRATCH_EN: 0
; COMPUTE_PGM_RSRC2:USER_SGPR: 2
; COMPUTE_PGM_RSRC2:TRAP_HANDLER: 0
; COMPUTE_PGM_RSRC2:TGID_X_EN: 1
; COMPUTE_PGM_RSRC2:TGID_Y_EN: 0
; COMPUTE_PGM_RSRC2:TGID_Z_EN: 0
; COMPUTE_PGM_RSRC2:TIDIG_COMP_CNT: 0
	.section	.text._ZN2ck45kernel_gemm_xdl_cshuffle_v3_b_preshuffle_2ldsINS_41GridwiseGemm_xdl_cshuffle_v3_b_preshuffleINS_13tensor_layout4gemm8RowMajorENS3_11ColumnMajorES4_NS_9f8_fnuz_tENS_7pk_i4_tEfDF16_DF16_NS_16tensor_operation12element_wise11PassThroughESA_SA_LNS8_6device18GemmSpecializationE0ELi256ELi256ELi256ELi128ELi16ELi32ELi16ELi16ELi8ELi8ENS_8SequenceIJLi8ELi32ELi1EEEENSD_IJLi1ELi0ELi2EEEESF_Li2ELi16ELi16ELb0ELi0ENSD_IJLi4ELi64ELi1EEEESF_SF_Li2ELi32ELi32ELb0ELi0ELi1ELi1ENSD_IJLi1ELi32ELi1ELi8EEEELi4ELNS_26BlockGemmPipelineSchedulerE0ELNS_24BlockGemmPipelineVersionE2ES6_S6_Lb0ELb0ELi0EEELb1ELNS_25InMemoryDataOperationEnumE0ELi1ELNS_10TailNumberE1EEEvNT_8ArgumentE,"axG",@progbits,_ZN2ck45kernel_gemm_xdl_cshuffle_v3_b_preshuffle_2ldsINS_41GridwiseGemm_xdl_cshuffle_v3_b_preshuffleINS_13tensor_layout4gemm8RowMajorENS3_11ColumnMajorES4_NS_9f8_fnuz_tENS_7pk_i4_tEfDF16_DF16_NS_16tensor_operation12element_wise11PassThroughESA_SA_LNS8_6device18GemmSpecializationE0ELi256ELi256ELi256ELi128ELi16ELi32ELi16ELi16ELi8ELi8ENS_8SequenceIJLi8ELi32ELi1EEEENSD_IJLi1ELi0ELi2EEEESF_Li2ELi16ELi16ELb0ELi0ENSD_IJLi4ELi64ELi1EEEESF_SF_Li2ELi32ELi32ELb0ELi0ELi1ELi1ENSD_IJLi1ELi32ELi1ELi8EEEELi4ELNS_26BlockGemmPipelineSchedulerE0ELNS_24BlockGemmPipelineVersionE2ES6_S6_Lb0ELb0ELi0EEELb1ELNS_25InMemoryDataOperationEnumE0ELi1ELNS_10TailNumberE1EEEvNT_8ArgumentE,comdat
	.protected	_ZN2ck45kernel_gemm_xdl_cshuffle_v3_b_preshuffle_2ldsINS_41GridwiseGemm_xdl_cshuffle_v3_b_preshuffleINS_13tensor_layout4gemm8RowMajorENS3_11ColumnMajorES4_NS_9f8_fnuz_tENS_7pk_i4_tEfDF16_DF16_NS_16tensor_operation12element_wise11PassThroughESA_SA_LNS8_6device18GemmSpecializationE0ELi256ELi256ELi256ELi128ELi16ELi32ELi16ELi16ELi8ELi8ENS_8SequenceIJLi8ELi32ELi1EEEENSD_IJLi1ELi0ELi2EEEESF_Li2ELi16ELi16ELb0ELi0ENSD_IJLi4ELi64ELi1EEEESF_SF_Li2ELi32ELi32ELb0ELi0ELi1ELi1ENSD_IJLi1ELi32ELi1ELi8EEEELi4ELNS_26BlockGemmPipelineSchedulerE0ELNS_24BlockGemmPipelineVersionE2ES6_S6_Lb0ELb0ELi0EEELb1ELNS_25InMemoryDataOperationEnumE0ELi1ELNS_10TailNumberE1EEEvNT_8ArgumentE ; -- Begin function _ZN2ck45kernel_gemm_xdl_cshuffle_v3_b_preshuffle_2ldsINS_41GridwiseGemm_xdl_cshuffle_v3_b_preshuffleINS_13tensor_layout4gemm8RowMajorENS3_11ColumnMajorES4_NS_9f8_fnuz_tENS_7pk_i4_tEfDF16_DF16_NS_16tensor_operation12element_wise11PassThroughESA_SA_LNS8_6device18GemmSpecializationE0ELi256ELi256ELi256ELi128ELi16ELi32ELi16ELi16ELi8ELi8ENS_8SequenceIJLi8ELi32ELi1EEEENSD_IJLi1ELi0ELi2EEEESF_Li2ELi16ELi16ELb0ELi0ENSD_IJLi4ELi64ELi1EEEESF_SF_Li2ELi32ELi32ELb0ELi0ELi1ELi1ENSD_IJLi1ELi32ELi1ELi8EEEELi4ELNS_26BlockGemmPipelineSchedulerE0ELNS_24BlockGemmPipelineVersionE2ES6_S6_Lb0ELb0ELi0EEELb1ELNS_25InMemoryDataOperationEnumE0ELi1ELNS_10TailNumberE1EEEvNT_8ArgumentE
	.globl	_ZN2ck45kernel_gemm_xdl_cshuffle_v3_b_preshuffle_2ldsINS_41GridwiseGemm_xdl_cshuffle_v3_b_preshuffleINS_13tensor_layout4gemm8RowMajorENS3_11ColumnMajorES4_NS_9f8_fnuz_tENS_7pk_i4_tEfDF16_DF16_NS_16tensor_operation12element_wise11PassThroughESA_SA_LNS8_6device18GemmSpecializationE0ELi256ELi256ELi256ELi128ELi16ELi32ELi16ELi16ELi8ELi8ENS_8SequenceIJLi8ELi32ELi1EEEENSD_IJLi1ELi0ELi2EEEESF_Li2ELi16ELi16ELb0ELi0ENSD_IJLi4ELi64ELi1EEEESF_SF_Li2ELi32ELi32ELb0ELi0ELi1ELi1ENSD_IJLi1ELi32ELi1ELi8EEEELi4ELNS_26BlockGemmPipelineSchedulerE0ELNS_24BlockGemmPipelineVersionE2ES6_S6_Lb0ELb0ELi0EEELb1ELNS_25InMemoryDataOperationEnumE0ELi1ELNS_10TailNumberE1EEEvNT_8ArgumentE
	.p2align	8
	.type	_ZN2ck45kernel_gemm_xdl_cshuffle_v3_b_preshuffle_2ldsINS_41GridwiseGemm_xdl_cshuffle_v3_b_preshuffleINS_13tensor_layout4gemm8RowMajorENS3_11ColumnMajorES4_NS_9f8_fnuz_tENS_7pk_i4_tEfDF16_DF16_NS_16tensor_operation12element_wise11PassThroughESA_SA_LNS8_6device18GemmSpecializationE0ELi256ELi256ELi256ELi128ELi16ELi32ELi16ELi16ELi8ELi8ENS_8SequenceIJLi8ELi32ELi1EEEENSD_IJLi1ELi0ELi2EEEESF_Li2ELi16ELi16ELb0ELi0ENSD_IJLi4ELi64ELi1EEEESF_SF_Li2ELi32ELi32ELb0ELi0ELi1ELi1ENSD_IJLi1ELi32ELi1ELi8EEEELi4ELNS_26BlockGemmPipelineSchedulerE0ELNS_24BlockGemmPipelineVersionE2ES6_S6_Lb0ELb0ELi0EEELb1ELNS_25InMemoryDataOperationEnumE0ELi1ELNS_10TailNumberE1EEEvNT_8ArgumentE,@function
_ZN2ck45kernel_gemm_xdl_cshuffle_v3_b_preshuffle_2ldsINS_41GridwiseGemm_xdl_cshuffle_v3_b_preshuffleINS_13tensor_layout4gemm8RowMajorENS3_11ColumnMajorES4_NS_9f8_fnuz_tENS_7pk_i4_tEfDF16_DF16_NS_16tensor_operation12element_wise11PassThroughESA_SA_LNS8_6device18GemmSpecializationE0ELi256ELi256ELi256ELi128ELi16ELi32ELi16ELi16ELi8ELi8ENS_8SequenceIJLi8ELi32ELi1EEEENSD_IJLi1ELi0ELi2EEEESF_Li2ELi16ELi16ELb0ELi0ENSD_IJLi4ELi64ELi1EEEESF_SF_Li2ELi32ELi32ELb0ELi0ELi1ELi1ENSD_IJLi1ELi32ELi1ELi8EEEELi4ELNS_26BlockGemmPipelineSchedulerE0ELNS_24BlockGemmPipelineVersionE2ES6_S6_Lb0ELb0ELi0EEELb1ELNS_25InMemoryDataOperationEnumE0ELi1ELNS_10TailNumberE1EEEvNT_8ArgumentE: ; @_ZN2ck45kernel_gemm_xdl_cshuffle_v3_b_preshuffle_2ldsINS_41GridwiseGemm_xdl_cshuffle_v3_b_preshuffleINS_13tensor_layout4gemm8RowMajorENS3_11ColumnMajorES4_NS_9f8_fnuz_tENS_7pk_i4_tEfDF16_DF16_NS_16tensor_operation12element_wise11PassThroughESA_SA_LNS8_6device18GemmSpecializationE0ELi256ELi256ELi256ELi128ELi16ELi32ELi16ELi16ELi8ELi8ENS_8SequenceIJLi8ELi32ELi1EEEENSD_IJLi1ELi0ELi2EEEESF_Li2ELi16ELi16ELb0ELi0ENSD_IJLi4ELi64ELi1EEEESF_SF_Li2ELi32ELi32ELb0ELi0ELi1ELi1ENSD_IJLi1ELi32ELi1ELi8EEEELi4ELNS_26BlockGemmPipelineSchedulerE0ELNS_24BlockGemmPipelineVersionE2ES6_S6_Lb0ELb0ELi0EEELb1ELNS_25InMemoryDataOperationEnumE0ELi1ELNS_10TailNumberE1EEEvNT_8ArgumentE
; %bb.0:
	s_endpgm
	.section	.rodata,"a",@progbits
	.p2align	6, 0x0
	.amdhsa_kernel _ZN2ck45kernel_gemm_xdl_cshuffle_v3_b_preshuffle_2ldsINS_41GridwiseGemm_xdl_cshuffle_v3_b_preshuffleINS_13tensor_layout4gemm8RowMajorENS3_11ColumnMajorES4_NS_9f8_fnuz_tENS_7pk_i4_tEfDF16_DF16_NS_16tensor_operation12element_wise11PassThroughESA_SA_LNS8_6device18GemmSpecializationE0ELi256ELi256ELi256ELi128ELi16ELi32ELi16ELi16ELi8ELi8ENS_8SequenceIJLi8ELi32ELi1EEEENSD_IJLi1ELi0ELi2EEEESF_Li2ELi16ELi16ELb0ELi0ENSD_IJLi4ELi64ELi1EEEESF_SF_Li2ELi32ELi32ELb0ELi0ELi1ELi1ENSD_IJLi1ELi32ELi1ELi8EEEELi4ELNS_26BlockGemmPipelineSchedulerE0ELNS_24BlockGemmPipelineVersionE2ES6_S6_Lb0ELb0ELi0EEELb1ELNS_25InMemoryDataOperationEnumE0ELi1ELNS_10TailNumberE1EEEvNT_8ArgumentE
		.amdhsa_group_segment_fixed_size 0
		.amdhsa_private_segment_fixed_size 0
		.amdhsa_kernarg_size 112
		.amdhsa_user_sgpr_count 2
		.amdhsa_user_sgpr_dispatch_ptr 0
		.amdhsa_user_sgpr_queue_ptr 0
		.amdhsa_user_sgpr_kernarg_segment_ptr 1
		.amdhsa_user_sgpr_dispatch_id 0
		.amdhsa_user_sgpr_private_segment_size 0
		.amdhsa_wavefront_size32 1
		.amdhsa_uses_dynamic_stack 0
		.amdhsa_enable_private_segment 0
		.amdhsa_system_sgpr_workgroup_id_x 1
		.amdhsa_system_sgpr_workgroup_id_y 0
		.amdhsa_system_sgpr_workgroup_id_z 0
		.amdhsa_system_sgpr_workgroup_info 0
		.amdhsa_system_vgpr_workitem_id 0
		.amdhsa_next_free_vgpr 1
		.amdhsa_next_free_sgpr 1
		.amdhsa_reserve_vcc 0
		.amdhsa_float_round_mode_32 0
		.amdhsa_float_round_mode_16_64 0
		.amdhsa_float_denorm_mode_32 3
		.amdhsa_float_denorm_mode_16_64 3
		.amdhsa_fp16_overflow 0
		.amdhsa_workgroup_processor_mode 1
		.amdhsa_memory_ordered 1
		.amdhsa_forward_progress 1
		.amdhsa_inst_pref_size 1
		.amdhsa_round_robin_scheduling 0
		.amdhsa_exception_fp_ieee_invalid_op 0
		.amdhsa_exception_fp_denorm_src 0
		.amdhsa_exception_fp_ieee_div_zero 0
		.amdhsa_exception_fp_ieee_overflow 0
		.amdhsa_exception_fp_ieee_underflow 0
		.amdhsa_exception_fp_ieee_inexact 0
		.amdhsa_exception_int_div_zero 0
	.end_amdhsa_kernel
	.section	.text._ZN2ck45kernel_gemm_xdl_cshuffle_v3_b_preshuffle_2ldsINS_41GridwiseGemm_xdl_cshuffle_v3_b_preshuffleINS_13tensor_layout4gemm8RowMajorENS3_11ColumnMajorES4_NS_9f8_fnuz_tENS_7pk_i4_tEfDF16_DF16_NS_16tensor_operation12element_wise11PassThroughESA_SA_LNS8_6device18GemmSpecializationE0ELi256ELi256ELi256ELi128ELi16ELi32ELi16ELi16ELi8ELi8ENS_8SequenceIJLi8ELi32ELi1EEEENSD_IJLi1ELi0ELi2EEEESF_Li2ELi16ELi16ELb0ELi0ENSD_IJLi4ELi64ELi1EEEESF_SF_Li2ELi32ELi32ELb0ELi0ELi1ELi1ENSD_IJLi1ELi32ELi1ELi8EEEELi4ELNS_26BlockGemmPipelineSchedulerE0ELNS_24BlockGemmPipelineVersionE2ES6_S6_Lb0ELb0ELi0EEELb1ELNS_25InMemoryDataOperationEnumE0ELi1ELNS_10TailNumberE1EEEvNT_8ArgumentE,"axG",@progbits,_ZN2ck45kernel_gemm_xdl_cshuffle_v3_b_preshuffle_2ldsINS_41GridwiseGemm_xdl_cshuffle_v3_b_preshuffleINS_13tensor_layout4gemm8RowMajorENS3_11ColumnMajorES4_NS_9f8_fnuz_tENS_7pk_i4_tEfDF16_DF16_NS_16tensor_operation12element_wise11PassThroughESA_SA_LNS8_6device18GemmSpecializationE0ELi256ELi256ELi256ELi128ELi16ELi32ELi16ELi16ELi8ELi8ENS_8SequenceIJLi8ELi32ELi1EEEENSD_IJLi1ELi0ELi2EEEESF_Li2ELi16ELi16ELb0ELi0ENSD_IJLi4ELi64ELi1EEEESF_SF_Li2ELi32ELi32ELb0ELi0ELi1ELi1ENSD_IJLi1ELi32ELi1ELi8EEEELi4ELNS_26BlockGemmPipelineSchedulerE0ELNS_24BlockGemmPipelineVersionE2ES6_S6_Lb0ELb0ELi0EEELb1ELNS_25InMemoryDataOperationEnumE0ELi1ELNS_10TailNumberE1EEEvNT_8ArgumentE,comdat
.Lfunc_end4:
	.size	_ZN2ck45kernel_gemm_xdl_cshuffle_v3_b_preshuffle_2ldsINS_41GridwiseGemm_xdl_cshuffle_v3_b_preshuffleINS_13tensor_layout4gemm8RowMajorENS3_11ColumnMajorES4_NS_9f8_fnuz_tENS_7pk_i4_tEfDF16_DF16_NS_16tensor_operation12element_wise11PassThroughESA_SA_LNS8_6device18GemmSpecializationE0ELi256ELi256ELi256ELi128ELi16ELi32ELi16ELi16ELi8ELi8ENS_8SequenceIJLi8ELi32ELi1EEEENSD_IJLi1ELi0ELi2EEEESF_Li2ELi16ELi16ELb0ELi0ENSD_IJLi4ELi64ELi1EEEESF_SF_Li2ELi32ELi32ELb0ELi0ELi1ELi1ENSD_IJLi1ELi32ELi1ELi8EEEELi4ELNS_26BlockGemmPipelineSchedulerE0ELNS_24BlockGemmPipelineVersionE2ES6_S6_Lb0ELb0ELi0EEELb1ELNS_25InMemoryDataOperationEnumE0ELi1ELNS_10TailNumberE1EEEvNT_8ArgumentE, .Lfunc_end4-_ZN2ck45kernel_gemm_xdl_cshuffle_v3_b_preshuffle_2ldsINS_41GridwiseGemm_xdl_cshuffle_v3_b_preshuffleINS_13tensor_layout4gemm8RowMajorENS3_11ColumnMajorES4_NS_9f8_fnuz_tENS_7pk_i4_tEfDF16_DF16_NS_16tensor_operation12element_wise11PassThroughESA_SA_LNS8_6device18GemmSpecializationE0ELi256ELi256ELi256ELi128ELi16ELi32ELi16ELi16ELi8ELi8ENS_8SequenceIJLi8ELi32ELi1EEEENSD_IJLi1ELi0ELi2EEEESF_Li2ELi16ELi16ELb0ELi0ENSD_IJLi4ELi64ELi1EEEESF_SF_Li2ELi32ELi32ELb0ELi0ELi1ELi1ENSD_IJLi1ELi32ELi1ELi8EEEELi4ELNS_26BlockGemmPipelineSchedulerE0ELNS_24BlockGemmPipelineVersionE2ES6_S6_Lb0ELb0ELi0EEELb1ELNS_25InMemoryDataOperationEnumE0ELi1ELNS_10TailNumberE1EEEvNT_8ArgumentE
                                        ; -- End function
	.set _ZN2ck45kernel_gemm_xdl_cshuffle_v3_b_preshuffle_2ldsINS_41GridwiseGemm_xdl_cshuffle_v3_b_preshuffleINS_13tensor_layout4gemm8RowMajorENS3_11ColumnMajorES4_NS_9f8_fnuz_tENS_7pk_i4_tEfDF16_DF16_NS_16tensor_operation12element_wise11PassThroughESA_SA_LNS8_6device18GemmSpecializationE0ELi256ELi256ELi256ELi128ELi16ELi32ELi16ELi16ELi8ELi8ENS_8SequenceIJLi8ELi32ELi1EEEENSD_IJLi1ELi0ELi2EEEESF_Li2ELi16ELi16ELb0ELi0ENSD_IJLi4ELi64ELi1EEEESF_SF_Li2ELi32ELi32ELb0ELi0ELi1ELi1ENSD_IJLi1ELi32ELi1ELi8EEEELi4ELNS_26BlockGemmPipelineSchedulerE0ELNS_24BlockGemmPipelineVersionE2ES6_S6_Lb0ELb0ELi0EEELb1ELNS_25InMemoryDataOperationEnumE0ELi1ELNS_10TailNumberE1EEEvNT_8ArgumentE.num_vgpr, 0
	.set _ZN2ck45kernel_gemm_xdl_cshuffle_v3_b_preshuffle_2ldsINS_41GridwiseGemm_xdl_cshuffle_v3_b_preshuffleINS_13tensor_layout4gemm8RowMajorENS3_11ColumnMajorES4_NS_9f8_fnuz_tENS_7pk_i4_tEfDF16_DF16_NS_16tensor_operation12element_wise11PassThroughESA_SA_LNS8_6device18GemmSpecializationE0ELi256ELi256ELi256ELi128ELi16ELi32ELi16ELi16ELi8ELi8ENS_8SequenceIJLi8ELi32ELi1EEEENSD_IJLi1ELi0ELi2EEEESF_Li2ELi16ELi16ELb0ELi0ENSD_IJLi4ELi64ELi1EEEESF_SF_Li2ELi32ELi32ELb0ELi0ELi1ELi1ENSD_IJLi1ELi32ELi1ELi8EEEELi4ELNS_26BlockGemmPipelineSchedulerE0ELNS_24BlockGemmPipelineVersionE2ES6_S6_Lb0ELb0ELi0EEELb1ELNS_25InMemoryDataOperationEnumE0ELi1ELNS_10TailNumberE1EEEvNT_8ArgumentE.num_agpr, 0
	.set _ZN2ck45kernel_gemm_xdl_cshuffle_v3_b_preshuffle_2ldsINS_41GridwiseGemm_xdl_cshuffle_v3_b_preshuffleINS_13tensor_layout4gemm8RowMajorENS3_11ColumnMajorES4_NS_9f8_fnuz_tENS_7pk_i4_tEfDF16_DF16_NS_16tensor_operation12element_wise11PassThroughESA_SA_LNS8_6device18GemmSpecializationE0ELi256ELi256ELi256ELi128ELi16ELi32ELi16ELi16ELi8ELi8ENS_8SequenceIJLi8ELi32ELi1EEEENSD_IJLi1ELi0ELi2EEEESF_Li2ELi16ELi16ELb0ELi0ENSD_IJLi4ELi64ELi1EEEESF_SF_Li2ELi32ELi32ELb0ELi0ELi1ELi1ENSD_IJLi1ELi32ELi1ELi8EEEELi4ELNS_26BlockGemmPipelineSchedulerE0ELNS_24BlockGemmPipelineVersionE2ES6_S6_Lb0ELb0ELi0EEELb1ELNS_25InMemoryDataOperationEnumE0ELi1ELNS_10TailNumberE1EEEvNT_8ArgumentE.numbered_sgpr, 0
	.set _ZN2ck45kernel_gemm_xdl_cshuffle_v3_b_preshuffle_2ldsINS_41GridwiseGemm_xdl_cshuffle_v3_b_preshuffleINS_13tensor_layout4gemm8RowMajorENS3_11ColumnMajorES4_NS_9f8_fnuz_tENS_7pk_i4_tEfDF16_DF16_NS_16tensor_operation12element_wise11PassThroughESA_SA_LNS8_6device18GemmSpecializationE0ELi256ELi256ELi256ELi128ELi16ELi32ELi16ELi16ELi8ELi8ENS_8SequenceIJLi8ELi32ELi1EEEENSD_IJLi1ELi0ELi2EEEESF_Li2ELi16ELi16ELb0ELi0ENSD_IJLi4ELi64ELi1EEEESF_SF_Li2ELi32ELi32ELb0ELi0ELi1ELi1ENSD_IJLi1ELi32ELi1ELi8EEEELi4ELNS_26BlockGemmPipelineSchedulerE0ELNS_24BlockGemmPipelineVersionE2ES6_S6_Lb0ELb0ELi0EEELb1ELNS_25InMemoryDataOperationEnumE0ELi1ELNS_10TailNumberE1EEEvNT_8ArgumentE.num_named_barrier, 0
	.set _ZN2ck45kernel_gemm_xdl_cshuffle_v3_b_preshuffle_2ldsINS_41GridwiseGemm_xdl_cshuffle_v3_b_preshuffleINS_13tensor_layout4gemm8RowMajorENS3_11ColumnMajorES4_NS_9f8_fnuz_tENS_7pk_i4_tEfDF16_DF16_NS_16tensor_operation12element_wise11PassThroughESA_SA_LNS8_6device18GemmSpecializationE0ELi256ELi256ELi256ELi128ELi16ELi32ELi16ELi16ELi8ELi8ENS_8SequenceIJLi8ELi32ELi1EEEENSD_IJLi1ELi0ELi2EEEESF_Li2ELi16ELi16ELb0ELi0ENSD_IJLi4ELi64ELi1EEEESF_SF_Li2ELi32ELi32ELb0ELi0ELi1ELi1ENSD_IJLi1ELi32ELi1ELi8EEEELi4ELNS_26BlockGemmPipelineSchedulerE0ELNS_24BlockGemmPipelineVersionE2ES6_S6_Lb0ELb0ELi0EEELb1ELNS_25InMemoryDataOperationEnumE0ELi1ELNS_10TailNumberE1EEEvNT_8ArgumentE.private_seg_size, 0
	.set _ZN2ck45kernel_gemm_xdl_cshuffle_v3_b_preshuffle_2ldsINS_41GridwiseGemm_xdl_cshuffle_v3_b_preshuffleINS_13tensor_layout4gemm8RowMajorENS3_11ColumnMajorES4_NS_9f8_fnuz_tENS_7pk_i4_tEfDF16_DF16_NS_16tensor_operation12element_wise11PassThroughESA_SA_LNS8_6device18GemmSpecializationE0ELi256ELi256ELi256ELi128ELi16ELi32ELi16ELi16ELi8ELi8ENS_8SequenceIJLi8ELi32ELi1EEEENSD_IJLi1ELi0ELi2EEEESF_Li2ELi16ELi16ELb0ELi0ENSD_IJLi4ELi64ELi1EEEESF_SF_Li2ELi32ELi32ELb0ELi0ELi1ELi1ENSD_IJLi1ELi32ELi1ELi8EEEELi4ELNS_26BlockGemmPipelineSchedulerE0ELNS_24BlockGemmPipelineVersionE2ES6_S6_Lb0ELb0ELi0EEELb1ELNS_25InMemoryDataOperationEnumE0ELi1ELNS_10TailNumberE1EEEvNT_8ArgumentE.uses_vcc, 0
	.set _ZN2ck45kernel_gemm_xdl_cshuffle_v3_b_preshuffle_2ldsINS_41GridwiseGemm_xdl_cshuffle_v3_b_preshuffleINS_13tensor_layout4gemm8RowMajorENS3_11ColumnMajorES4_NS_9f8_fnuz_tENS_7pk_i4_tEfDF16_DF16_NS_16tensor_operation12element_wise11PassThroughESA_SA_LNS8_6device18GemmSpecializationE0ELi256ELi256ELi256ELi128ELi16ELi32ELi16ELi16ELi8ELi8ENS_8SequenceIJLi8ELi32ELi1EEEENSD_IJLi1ELi0ELi2EEEESF_Li2ELi16ELi16ELb0ELi0ENSD_IJLi4ELi64ELi1EEEESF_SF_Li2ELi32ELi32ELb0ELi0ELi1ELi1ENSD_IJLi1ELi32ELi1ELi8EEEELi4ELNS_26BlockGemmPipelineSchedulerE0ELNS_24BlockGemmPipelineVersionE2ES6_S6_Lb0ELb0ELi0EEELb1ELNS_25InMemoryDataOperationEnumE0ELi1ELNS_10TailNumberE1EEEvNT_8ArgumentE.uses_flat_scratch, 0
	.set _ZN2ck45kernel_gemm_xdl_cshuffle_v3_b_preshuffle_2ldsINS_41GridwiseGemm_xdl_cshuffle_v3_b_preshuffleINS_13tensor_layout4gemm8RowMajorENS3_11ColumnMajorES4_NS_9f8_fnuz_tENS_7pk_i4_tEfDF16_DF16_NS_16tensor_operation12element_wise11PassThroughESA_SA_LNS8_6device18GemmSpecializationE0ELi256ELi256ELi256ELi128ELi16ELi32ELi16ELi16ELi8ELi8ENS_8SequenceIJLi8ELi32ELi1EEEENSD_IJLi1ELi0ELi2EEEESF_Li2ELi16ELi16ELb0ELi0ENSD_IJLi4ELi64ELi1EEEESF_SF_Li2ELi32ELi32ELb0ELi0ELi1ELi1ENSD_IJLi1ELi32ELi1ELi8EEEELi4ELNS_26BlockGemmPipelineSchedulerE0ELNS_24BlockGemmPipelineVersionE2ES6_S6_Lb0ELb0ELi0EEELb1ELNS_25InMemoryDataOperationEnumE0ELi1ELNS_10TailNumberE1EEEvNT_8ArgumentE.has_dyn_sized_stack, 0
	.set _ZN2ck45kernel_gemm_xdl_cshuffle_v3_b_preshuffle_2ldsINS_41GridwiseGemm_xdl_cshuffle_v3_b_preshuffleINS_13tensor_layout4gemm8RowMajorENS3_11ColumnMajorES4_NS_9f8_fnuz_tENS_7pk_i4_tEfDF16_DF16_NS_16tensor_operation12element_wise11PassThroughESA_SA_LNS8_6device18GemmSpecializationE0ELi256ELi256ELi256ELi128ELi16ELi32ELi16ELi16ELi8ELi8ENS_8SequenceIJLi8ELi32ELi1EEEENSD_IJLi1ELi0ELi2EEEESF_Li2ELi16ELi16ELb0ELi0ENSD_IJLi4ELi64ELi1EEEESF_SF_Li2ELi32ELi32ELb0ELi0ELi1ELi1ENSD_IJLi1ELi32ELi1ELi8EEEELi4ELNS_26BlockGemmPipelineSchedulerE0ELNS_24BlockGemmPipelineVersionE2ES6_S6_Lb0ELb0ELi0EEELb1ELNS_25InMemoryDataOperationEnumE0ELi1ELNS_10TailNumberE1EEEvNT_8ArgumentE.has_recursion, 0
	.set _ZN2ck45kernel_gemm_xdl_cshuffle_v3_b_preshuffle_2ldsINS_41GridwiseGemm_xdl_cshuffle_v3_b_preshuffleINS_13tensor_layout4gemm8RowMajorENS3_11ColumnMajorES4_NS_9f8_fnuz_tENS_7pk_i4_tEfDF16_DF16_NS_16tensor_operation12element_wise11PassThroughESA_SA_LNS8_6device18GemmSpecializationE0ELi256ELi256ELi256ELi128ELi16ELi32ELi16ELi16ELi8ELi8ENS_8SequenceIJLi8ELi32ELi1EEEENSD_IJLi1ELi0ELi2EEEESF_Li2ELi16ELi16ELb0ELi0ENSD_IJLi4ELi64ELi1EEEESF_SF_Li2ELi32ELi32ELb0ELi0ELi1ELi1ENSD_IJLi1ELi32ELi1ELi8EEEELi4ELNS_26BlockGemmPipelineSchedulerE0ELNS_24BlockGemmPipelineVersionE2ES6_S6_Lb0ELb0ELi0EEELb1ELNS_25InMemoryDataOperationEnumE0ELi1ELNS_10TailNumberE1EEEvNT_8ArgumentE.has_indirect_call, 0
	.section	.AMDGPU.csdata,"",@progbits
; Kernel info:
; codeLenInByte = 4
; TotalNumSgprs: 0
; NumVgprs: 0
; ScratchSize: 0
; MemoryBound: 0
; FloatMode: 240
; IeeeMode: 1
; LDSByteSize: 0 bytes/workgroup (compile time only)
; SGPRBlocks: 0
; VGPRBlocks: 0
; NumSGPRsForWavesPerEU: 1
; NumVGPRsForWavesPerEU: 1
; Occupancy: 16
; WaveLimiterHint : 0
; COMPUTE_PGM_RSRC2:SCRATCH_EN: 0
; COMPUTE_PGM_RSRC2:USER_SGPR: 2
; COMPUTE_PGM_RSRC2:TRAP_HANDLER: 0
; COMPUTE_PGM_RSRC2:TGID_X_EN: 1
; COMPUTE_PGM_RSRC2:TGID_Y_EN: 0
; COMPUTE_PGM_RSRC2:TGID_Z_EN: 0
; COMPUTE_PGM_RSRC2:TIDIG_COMP_CNT: 0
	.text
	.p2align	2                               ; -- Begin function _ZNK2ck44ThreadwiseTensorSliceTransfer_StaticToStaticINS_7pk_i4_tENS_9f8_fnuz_tEKNS_16TensorDescriptorINS_5TupleIJNS_7UnMergeINS4_IJNS_17integral_constantIiLi4EEENS6_IiLi1EEENS6_IiLi2EEENS6_IiLi32EEEEEELb0EEEEEENS4_IJNS_8SequenceIJLi0EEEEEEENS4_IJNSE_IJLi1ELi2ELi3ELi4EEEEEEESH_NS6_IlLl256EEEEESL_NS_16tensor_operation12element_wise11PassThroughENSE_IJLi4ELi1ELi2ELi32EEEENSE_IJLi1ELi2ELi0ELi3EEEELi3ELi32ELb0EE3RunINS4_IJNS6_IiLi0EEEST_ST_ST_EEESU_NS_12StaticBufferILNS_16AddressSpaceEnumE4ES1_Li256ELb1EEENSV_ILSW_4ES2_Li256ELb1EEEEEvRSL_RKT_RKT1_SZ_RKT0_RT2_
	.type	_ZNK2ck44ThreadwiseTensorSliceTransfer_StaticToStaticINS_7pk_i4_tENS_9f8_fnuz_tEKNS_16TensorDescriptorINS_5TupleIJNS_7UnMergeINS4_IJNS_17integral_constantIiLi4EEENS6_IiLi1EEENS6_IiLi2EEENS6_IiLi32EEEEEELb0EEEEEENS4_IJNS_8SequenceIJLi0EEEEEEENS4_IJNSE_IJLi1ELi2ELi3ELi4EEEEEEESH_NS6_IlLl256EEEEESL_NS_16tensor_operation12element_wise11PassThroughENSE_IJLi4ELi1ELi2ELi32EEEENSE_IJLi1ELi2ELi0ELi3EEEELi3ELi32ELb0EE3RunINS4_IJNS6_IiLi0EEEST_ST_ST_EEESU_NS_12StaticBufferILNS_16AddressSpaceEnumE4ES1_Li256ELb1EEENSV_ILSW_4ES2_Li256ELb1EEEEEvRSL_RKT_RKT1_SZ_RKT0_RT2_,@function
_ZNK2ck44ThreadwiseTensorSliceTransfer_StaticToStaticINS_7pk_i4_tENS_9f8_fnuz_tEKNS_16TensorDescriptorINS_5TupleIJNS_7UnMergeINS4_IJNS_17integral_constantIiLi4EEENS6_IiLi1EEENS6_IiLi2EEENS6_IiLi32EEEEEELb0EEEEEENS4_IJNS_8SequenceIJLi0EEEEEEENS4_IJNSE_IJLi1ELi2ELi3ELi4EEEEEEESH_NS6_IlLl256EEEEESL_NS_16tensor_operation12element_wise11PassThroughENSE_IJLi4ELi1ELi2ELi32EEEENSE_IJLi1ELi2ELi0ELi3EEEELi3ELi32ELb0EE3RunINS4_IJNS6_IiLi0EEEST_ST_ST_EEESU_NS_12StaticBufferILNS_16AddressSpaceEnumE4ES1_Li256ELb1EEENSV_ILSW_4ES2_Li256ELb1EEEEEvRSL_RKT_RKT1_SZ_RKT0_RT2_: ; @_ZNK2ck44ThreadwiseTensorSliceTransfer_StaticToStaticINS_7pk_i4_tENS_9f8_fnuz_tEKNS_16TensorDescriptorINS_5TupleIJNS_7UnMergeINS4_IJNS_17integral_constantIiLi4EEENS6_IiLi1EEENS6_IiLi2EEENS6_IiLi32EEEEEELb0EEEEEENS4_IJNS_8SequenceIJLi0EEEEEEENS4_IJNSE_IJLi1ELi2ELi3ELi4EEEEEEESH_NS6_IlLl256EEEEESL_NS_16tensor_operation12element_wise11PassThroughENSE_IJLi4ELi1ELi2ELi32EEEENSE_IJLi1ELi2ELi0ELi3EEEELi3ELi32ELb0EE3RunINS4_IJNS6_IiLi0EEEST_ST_ST_EEESU_NS_12StaticBufferILNS_16AddressSpaceEnumE4ES1_Li256ELb1EEENSV_ILSW_4ES2_Li256ELb1EEEEEvRSL_RKT_RKT1_SZ_RKT0_RT2_
; %bb.0:
	s_wait_loadcnt_dscnt 0x0
	s_wait_expcnt 0x0
	s_wait_samplecnt 0x0
	s_wait_bvhcnt 0x0
	s_wait_kmcnt 0x0
	flat_load_b128 v[4:7], v[0:1]
	v_dual_mov_b32 v8, 0 :: v_dual_mov_b32 v9, 0
	v_dual_mov_b32 v10, 0 :: v_dual_mov_b32 v11, 0
	v_dual_mov_b32 v12, 0 :: v_dual_mov_b32 v13, 0
	v_dual_mov_b32 v14, 0 :: v_dual_mov_b32 v15, 0
	s_wait_loadcnt_dscnt 0x0
	;;#ASMSTART
	v_cvt_off_f32_i4 v16, v4
	;;#ASMEND
	v_ashrrev_i32_e32 v17, 16, v4
	v_ashrrev_i32_e32 v18, 8, v4
	;; [unrolled: 1-line block ×24, first 2 shown]
	;;#ASMSTART
	v_cvt_off_f32_i4 v17, v17
	;;#ASMEND
	;;#ASMSTART
	v_cvt_off_f32_i4 v18, v18
	;;#ASMEND
	;; [unrolled: 3-line block ×11, first 2 shown]
	v_cvt_pk_fp8_f32 v8, v16, v17
	v_cvt_pk_fp8_f32 v9, v18, v19
	;; [unrolled: 1-line block ×4, first 2 shown]
	v_ashrrev_i32_e32 v48, 4, v7
	v_ashrrev_i32_e32 v49, 20, v7
	;; [unrolled: 1-line block ×4, first 2 shown]
	;;#ASMSTART
	v_cvt_off_f32_i4 v26, v26
	;;#ASMEND
	;;#ASMSTART
	v_cvt_off_f32_i4 v27, v27
	;;#ASMEND
	;; [unrolled: 3-line block ×16, first 2 shown]
	v_cvt_pk_fp8_f32 v12, v6, v30
	v_cvt_pk_fp8_f32 v13, v31, v32
	;; [unrolled: 1-line block ×4, first 2 shown]
	v_cvt_pk_fp8_f32 v8, v20, v21 op_sel:[0,0,1]
	v_cvt_pk_fp8_f32 v9, v22, v4 op_sel:[0,0,1]
	;; [unrolled: 1-line block ×4, first 2 shown]
	;;#ASMSTART
	v_cvt_off_f32_i4 v48, v48
	;;#ASMEND
	;;#ASMSTART
	v_cvt_off_f32_i4 v49, v49
	;;#ASMEND
	;; [unrolled: 3-line block ×4, first 2 shown]
	v_cvt_pk_fp8_f32 v12, v33, v34 op_sel:[0,0,1]
	v_cvt_pk_fp8_f32 v13, v35, v36 op_sel:[0,0,1]
	;; [unrolled: 1-line block ×4, first 2 shown]
	s_clause 0x1
	flat_store_b128 v[2:3], v[8:11]
	flat_store_b128 v[2:3], v[12:15] offset:16
	flat_load_b128 v[4:7], v[0:1] offset:64
	v_dual_mov_b32 v8, 0 :: v_dual_mov_b32 v9, 0
	v_dual_mov_b32 v10, 0 :: v_dual_mov_b32 v11, 0
	;; [unrolled: 1-line block ×4, first 2 shown]
	s_wait_loadcnt_dscnt 0x0
	;;#ASMSTART
	v_cvt_off_f32_i4 v16, v4
	;;#ASMEND
	v_ashrrev_i32_e32 v17, 16, v4
	v_ashrrev_i32_e32 v18, 8, v4
	;; [unrolled: 1-line block ×24, first 2 shown]
	;;#ASMSTART
	v_cvt_off_f32_i4 v17, v17
	;;#ASMEND
	;;#ASMSTART
	v_cvt_off_f32_i4 v18, v18
	;;#ASMEND
	;; [unrolled: 3-line block ×11, first 2 shown]
	v_cvt_pk_fp8_f32 v8, v16, v17
	v_cvt_pk_fp8_f32 v9, v18, v19
	;; [unrolled: 1-line block ×4, first 2 shown]
	v_ashrrev_i32_e32 v48, 4, v7
	v_ashrrev_i32_e32 v49, 20, v7
	;; [unrolled: 1-line block ×4, first 2 shown]
	;;#ASMSTART
	v_cvt_off_f32_i4 v26, v26
	;;#ASMEND
	;;#ASMSTART
	v_cvt_off_f32_i4 v27, v27
	;;#ASMEND
	;; [unrolled: 3-line block ×16, first 2 shown]
	v_cvt_pk_fp8_f32 v12, v6, v30
	v_cvt_pk_fp8_f32 v13, v31, v32
	;; [unrolled: 1-line block ×4, first 2 shown]
	v_cvt_pk_fp8_f32 v8, v20, v21 op_sel:[0,0,1]
	v_cvt_pk_fp8_f32 v9, v22, v4 op_sel:[0,0,1]
	;; [unrolled: 1-line block ×4, first 2 shown]
	;;#ASMSTART
	v_cvt_off_f32_i4 v48, v48
	;;#ASMEND
	;;#ASMSTART
	v_cvt_off_f32_i4 v49, v49
	;;#ASMEND
	;; [unrolled: 3-line block ×4, first 2 shown]
	v_cvt_pk_fp8_f32 v12, v33, v34 op_sel:[0,0,1]
	v_cvt_pk_fp8_f32 v13, v35, v36 op_sel:[0,0,1]
	;; [unrolled: 1-line block ×4, first 2 shown]
	s_clause 0x1
	flat_store_b128 v[2:3], v[8:11] offset:64
	flat_store_b128 v[2:3], v[12:15] offset:80
	flat_load_b128 v[4:7], v[0:1] offset:128
	v_dual_mov_b32 v8, 0 :: v_dual_mov_b32 v9, 0
	v_dual_mov_b32 v10, 0 :: v_dual_mov_b32 v11, 0
	;; [unrolled: 1-line block ×4, first 2 shown]
	s_wait_loadcnt_dscnt 0x0
	;;#ASMSTART
	v_cvt_off_f32_i4 v16, v4
	;;#ASMEND
	v_ashrrev_i32_e32 v17, 16, v4
	v_ashrrev_i32_e32 v18, 8, v4
	;; [unrolled: 1-line block ×24, first 2 shown]
	;;#ASMSTART
	v_cvt_off_f32_i4 v17, v17
	;;#ASMEND
	;;#ASMSTART
	v_cvt_off_f32_i4 v18, v18
	;;#ASMEND
	;; [unrolled: 3-line block ×11, first 2 shown]
	v_cvt_pk_fp8_f32 v8, v16, v17
	v_cvt_pk_fp8_f32 v9, v18, v19
	;; [unrolled: 1-line block ×4, first 2 shown]
	v_ashrrev_i32_e32 v48, 4, v7
	v_ashrrev_i32_e32 v49, 20, v7
	;; [unrolled: 1-line block ×4, first 2 shown]
	;;#ASMSTART
	v_cvt_off_f32_i4 v26, v26
	;;#ASMEND
	;;#ASMSTART
	v_cvt_off_f32_i4 v27, v27
	;;#ASMEND
	;; [unrolled: 3-line block ×16, first 2 shown]
	v_cvt_pk_fp8_f32 v12, v6, v30
	v_cvt_pk_fp8_f32 v13, v31, v32
	;; [unrolled: 1-line block ×4, first 2 shown]
	v_cvt_pk_fp8_f32 v8, v20, v21 op_sel:[0,0,1]
	v_cvt_pk_fp8_f32 v9, v22, v4 op_sel:[0,0,1]
	;; [unrolled: 1-line block ×4, first 2 shown]
	;;#ASMSTART
	v_cvt_off_f32_i4 v48, v48
	;;#ASMEND
	;;#ASMSTART
	v_cvt_off_f32_i4 v49, v49
	;;#ASMEND
	;; [unrolled: 3-line block ×4, first 2 shown]
	v_cvt_pk_fp8_f32 v12, v33, v34 op_sel:[0,0,1]
	v_cvt_pk_fp8_f32 v13, v35, v36 op_sel:[0,0,1]
	;; [unrolled: 1-line block ×4, first 2 shown]
	s_clause 0x1
	flat_store_b128 v[2:3], v[8:11] offset:128
	flat_store_b128 v[2:3], v[12:15] offset:144
	flat_load_b128 v[4:7], v[0:1] offset:192
	v_dual_mov_b32 v8, 0 :: v_dual_mov_b32 v9, 0
	v_dual_mov_b32 v10, 0 :: v_dual_mov_b32 v11, 0
	;; [unrolled: 1-line block ×4, first 2 shown]
	s_wait_loadcnt_dscnt 0x0
	;;#ASMSTART
	v_cvt_off_f32_i4 v16, v4
	;;#ASMEND
	v_ashrrev_i32_e32 v17, 16, v4
	v_ashrrev_i32_e32 v18, 8, v4
	;; [unrolled: 1-line block ×24, first 2 shown]
	;;#ASMSTART
	v_cvt_off_f32_i4 v17, v17
	;;#ASMEND
	;;#ASMSTART
	v_cvt_off_f32_i4 v18, v18
	;;#ASMEND
	;; [unrolled: 3-line block ×11, first 2 shown]
	v_cvt_pk_fp8_f32 v8, v16, v17
	v_cvt_pk_fp8_f32 v9, v18, v19
	;; [unrolled: 1-line block ×4, first 2 shown]
	v_ashrrev_i32_e32 v48, 4, v7
	v_ashrrev_i32_e32 v49, 20, v7
	;; [unrolled: 1-line block ×4, first 2 shown]
	;;#ASMSTART
	v_cvt_off_f32_i4 v26, v26
	;;#ASMEND
	;;#ASMSTART
	v_cvt_off_f32_i4 v27, v27
	;;#ASMEND
	;; [unrolled: 3-line block ×16, first 2 shown]
	v_cvt_pk_fp8_f32 v12, v6, v30
	v_cvt_pk_fp8_f32 v13, v31, v32
	;; [unrolled: 1-line block ×4, first 2 shown]
	v_cvt_pk_fp8_f32 v8, v20, v21 op_sel:[0,0,1]
	v_cvt_pk_fp8_f32 v9, v22, v4 op_sel:[0,0,1]
	;; [unrolled: 1-line block ×4, first 2 shown]
	;;#ASMSTART
	v_cvt_off_f32_i4 v48, v48
	;;#ASMEND
	;;#ASMSTART
	v_cvt_off_f32_i4 v49, v49
	;;#ASMEND
	;; [unrolled: 3-line block ×4, first 2 shown]
	v_cvt_pk_fp8_f32 v12, v33, v34 op_sel:[0,0,1]
	v_cvt_pk_fp8_f32 v13, v35, v36 op_sel:[0,0,1]
	;; [unrolled: 1-line block ×4, first 2 shown]
	s_clause 0x1
	flat_store_b128 v[2:3], v[8:11] offset:192
	flat_store_b128 v[2:3], v[12:15] offset:208
	flat_load_b128 v[4:7], v[0:1] offset:224
	v_dual_mov_b32 v8, 0 :: v_dual_mov_b32 v9, 0
	v_dual_mov_b32 v10, 0 :: v_dual_mov_b32 v11, 0
	;; [unrolled: 1-line block ×4, first 2 shown]
	s_wait_loadcnt_dscnt 0x0
	;;#ASMSTART
	v_cvt_off_f32_i4 v16, v4
	;;#ASMEND
	v_ashrrev_i32_e32 v17, 16, v4
	v_ashrrev_i32_e32 v18, 8, v4
	;; [unrolled: 1-line block ×24, first 2 shown]
	;;#ASMSTART
	v_cvt_off_f32_i4 v17, v17
	;;#ASMEND
	;;#ASMSTART
	v_cvt_off_f32_i4 v18, v18
	;;#ASMEND
	;;#ASMSTART
	v_cvt_off_f32_i4 v19, v19
	;;#ASMEND
	;;#ASMSTART
	v_cvt_off_f32_i4 v20, v20
	;;#ASMEND
	;;#ASMSTART
	v_cvt_off_f32_i4 v21, v21
	;;#ASMEND
	;;#ASMSTART
	v_cvt_off_f32_i4 v22, v22
	;;#ASMEND
	;;#ASMSTART
	v_cvt_off_f32_i4 v4, v4
	;;#ASMEND
	;;#ASMSTART
	v_cvt_off_f32_i4 v5, v5
	;;#ASMEND
	;;#ASMSTART
	v_cvt_off_f32_i4 v23, v23
	;;#ASMEND
	;;#ASMSTART
	v_cvt_off_f32_i4 v24, v24
	;;#ASMEND
	;;#ASMSTART
	v_cvt_off_f32_i4 v25, v25
	;;#ASMEND
	v_cvt_pk_fp8_f32 v8, v16, v17
	v_cvt_pk_fp8_f32 v9, v18, v19
	;; [unrolled: 1-line block ×4, first 2 shown]
	v_ashrrev_i32_e32 v48, 4, v7
	v_ashrrev_i32_e32 v49, 20, v7
	;; [unrolled: 1-line block ×4, first 2 shown]
	;;#ASMSTART
	v_cvt_off_f32_i4 v26, v26
	;;#ASMEND
	;;#ASMSTART
	v_cvt_off_f32_i4 v27, v27
	;;#ASMEND
	;; [unrolled: 3-line block ×16, first 2 shown]
	v_cvt_pk_fp8_f32 v12, v6, v30
	v_cvt_pk_fp8_f32 v13, v31, v32
	;; [unrolled: 1-line block ×4, first 2 shown]
	v_cvt_pk_fp8_f32 v8, v20, v21 op_sel:[0,0,1]
	v_cvt_pk_fp8_f32 v9, v22, v4 op_sel:[0,0,1]
	;; [unrolled: 1-line block ×4, first 2 shown]
	;;#ASMSTART
	v_cvt_off_f32_i4 v48, v48
	;;#ASMEND
	;;#ASMSTART
	v_cvt_off_f32_i4 v49, v49
	;;#ASMEND
	;; [unrolled: 3-line block ×4, first 2 shown]
	v_cvt_pk_fp8_f32 v12, v33, v34 op_sel:[0,0,1]
	v_cvt_pk_fp8_f32 v13, v35, v36 op_sel:[0,0,1]
	;; [unrolled: 1-line block ×4, first 2 shown]
	s_clause 0x1
	flat_store_b128 v[2:3], v[8:11] offset:224
	flat_store_b128 v[2:3], v[12:15] offset:240
	flat_load_b128 v[4:7], v[0:1] offset:160
	v_dual_mov_b32 v8, 0 :: v_dual_mov_b32 v9, 0
	v_dual_mov_b32 v10, 0 :: v_dual_mov_b32 v11, 0
	;; [unrolled: 1-line block ×4, first 2 shown]
	s_wait_loadcnt_dscnt 0x0
	;;#ASMSTART
	v_cvt_off_f32_i4 v16, v4
	;;#ASMEND
	v_ashrrev_i32_e32 v17, 16, v4
	v_ashrrev_i32_e32 v18, 8, v4
	;; [unrolled: 1-line block ×24, first 2 shown]
	;;#ASMSTART
	v_cvt_off_f32_i4 v17, v17
	;;#ASMEND
	;;#ASMSTART
	v_cvt_off_f32_i4 v18, v18
	;;#ASMEND
	;; [unrolled: 3-line block ×11, first 2 shown]
	v_cvt_pk_fp8_f32 v8, v16, v17
	v_cvt_pk_fp8_f32 v9, v18, v19
	v_cvt_pk_fp8_f32 v10, v5, v23
	v_cvt_pk_fp8_f32 v11, v24, v25
	v_ashrrev_i32_e32 v48, 4, v7
	v_ashrrev_i32_e32 v49, 20, v7
	;; [unrolled: 1-line block ×4, first 2 shown]
	;;#ASMSTART
	v_cvt_off_f32_i4 v26, v26
	;;#ASMEND
	;;#ASMSTART
	v_cvt_off_f32_i4 v27, v27
	;;#ASMEND
	;; [unrolled: 3-line block ×16, first 2 shown]
	v_cvt_pk_fp8_f32 v12, v6, v30
	v_cvt_pk_fp8_f32 v13, v31, v32
	v_cvt_pk_fp8_f32 v14, v7, v37
	v_cvt_pk_fp8_f32 v15, v38, v39
	v_cvt_pk_fp8_f32 v8, v20, v21 op_sel:[0,0,1]
	v_cvt_pk_fp8_f32 v9, v22, v4 op_sel:[0,0,1]
	;; [unrolled: 1-line block ×4, first 2 shown]
	;;#ASMSTART
	v_cvt_off_f32_i4 v48, v48
	;;#ASMEND
	;;#ASMSTART
	v_cvt_off_f32_i4 v49, v49
	;;#ASMEND
	;; [unrolled: 3-line block ×4, first 2 shown]
	v_cvt_pk_fp8_f32 v12, v33, v34 op_sel:[0,0,1]
	v_cvt_pk_fp8_f32 v13, v35, v36 op_sel:[0,0,1]
	v_cvt_pk_fp8_f32 v14, v48, v49 op_sel:[0,0,1]
	v_cvt_pk_fp8_f32 v15, v50, v51 op_sel:[0,0,1]
	s_clause 0x1
	flat_store_b128 v[2:3], v[8:11] offset:160
	flat_store_b128 v[2:3], v[12:15] offset:176
	flat_load_b128 v[4:7], v[0:1] offset:96
	v_dual_mov_b32 v8, 0 :: v_dual_mov_b32 v9, 0
	v_dual_mov_b32 v10, 0 :: v_dual_mov_b32 v11, 0
	;; [unrolled: 1-line block ×4, first 2 shown]
	s_wait_loadcnt_dscnt 0x0
	;;#ASMSTART
	v_cvt_off_f32_i4 v16, v4
	;;#ASMEND
	v_ashrrev_i32_e32 v17, 16, v4
	v_ashrrev_i32_e32 v18, 8, v4
	;; [unrolled: 1-line block ×24, first 2 shown]
	;;#ASMSTART
	v_cvt_off_f32_i4 v17, v17
	;;#ASMEND
	;;#ASMSTART
	v_cvt_off_f32_i4 v18, v18
	;;#ASMEND
	;; [unrolled: 3-line block ×11, first 2 shown]
	v_cvt_pk_fp8_f32 v8, v16, v17
	v_cvt_pk_fp8_f32 v9, v18, v19
	;; [unrolled: 1-line block ×4, first 2 shown]
	v_ashrrev_i32_e32 v48, 4, v7
	v_ashrrev_i32_e32 v49, 20, v7
	;; [unrolled: 1-line block ×4, first 2 shown]
	;;#ASMSTART
	v_cvt_off_f32_i4 v26, v26
	;;#ASMEND
	;;#ASMSTART
	v_cvt_off_f32_i4 v27, v27
	;;#ASMEND
	;; [unrolled: 3-line block ×16, first 2 shown]
	v_cvt_pk_fp8_f32 v12, v6, v30
	v_cvt_pk_fp8_f32 v13, v31, v32
	;; [unrolled: 1-line block ×4, first 2 shown]
	v_cvt_pk_fp8_f32 v8, v20, v21 op_sel:[0,0,1]
	v_cvt_pk_fp8_f32 v9, v22, v4 op_sel:[0,0,1]
	;; [unrolled: 1-line block ×4, first 2 shown]
	;;#ASMSTART
	v_cvt_off_f32_i4 v48, v48
	;;#ASMEND
	;;#ASMSTART
	v_cvt_off_f32_i4 v49, v49
	;;#ASMEND
	;; [unrolled: 3-line block ×4, first 2 shown]
	v_cvt_pk_fp8_f32 v12, v33, v34 op_sel:[0,0,1]
	v_cvt_pk_fp8_f32 v13, v35, v36 op_sel:[0,0,1]
	;; [unrolled: 1-line block ×4, first 2 shown]
	s_clause 0x1
	flat_store_b128 v[2:3], v[8:11] offset:96
	flat_store_b128 v[2:3], v[12:15] offset:112
	flat_load_b128 v[4:7], v[0:1] offset:32
	v_dual_mov_b32 v11, 0 :: v_dual_mov_b32 v12, 0
	v_dual_mov_b32 v13, 0 :: v_dual_mov_b32 v14, 0
	;; [unrolled: 1-line block ×4, first 2 shown]
	s_wait_loadcnt_dscnt 0x0
	;;#ASMSTART
	v_cvt_off_f32_i4 v0, v4
	;;#ASMEND
	v_ashrrev_i32_e32 v1, 16, v4
	v_ashrrev_i32_e32 v16, 8, v4
	;; [unrolled: 1-line block ×24, first 2 shown]
	;;#ASMSTART
	v_cvt_off_f32_i4 v1, v1
	;;#ASMEND
	;;#ASMSTART
	v_cvt_off_f32_i4 v16, v16
	;;#ASMEND
	;; [unrolled: 3-line block ×11, first 2 shown]
	v_cvt_pk_fp8_f32 v12, v0, v1
	v_cvt_pk_fp8_f32 v13, v16, v17
	;; [unrolled: 1-line block ×4, first 2 shown]
	v_ashrrev_i32_e32 v38, 4, v7
	v_ashrrev_i32_e32 v39, 20, v7
	;; [unrolled: 1-line block ×4, first 2 shown]
	;;#ASMSTART
	v_cvt_off_f32_i4 v24, v24
	;;#ASMEND
	;;#ASMSTART
	v_cvt_off_f32_i4 v25, v25
	;;#ASMEND
	;; [unrolled: 3-line block ×16, first 2 shown]
	v_cvt_pk_fp8_f32 v8, v6, v28
	v_cvt_pk_fp8_f32 v9, v29, v30
	;; [unrolled: 1-line block ×4, first 2 shown]
	v_cvt_pk_fp8_f32 v12, v18, v19 op_sel:[0,0,1]
	v_cvt_pk_fp8_f32 v13, v20, v4 op_sel:[0,0,1]
	;; [unrolled: 1-line block ×4, first 2 shown]
	;;#ASMSTART
	v_cvt_off_f32_i4 v38, v38
	;;#ASMEND
	;;#ASMSTART
	v_cvt_off_f32_i4 v39, v39
	;;#ASMEND
	;;#ASMSTART
	v_cvt_off_f32_i4 v48, v48
	;;#ASMEND
	;;#ASMSTART
	v_cvt_off_f32_i4 v49, v49
	;;#ASMEND
	v_cvt_pk_fp8_f32 v8, v31, v32 op_sel:[0,0,1]
	v_cvt_pk_fp8_f32 v9, v33, v34 op_sel:[0,0,1]
	;; [unrolled: 1-line block ×4, first 2 shown]
	s_clause 0x1
	flat_store_b128 v[2:3], v[12:15] offset:32
	flat_store_b128 v[2:3], v[8:11] offset:48
	s_wait_dscnt 0x0
	s_setpc_b64 s[30:31]
.Lfunc_end5:
	.size	_ZNK2ck44ThreadwiseTensorSliceTransfer_StaticToStaticINS_7pk_i4_tENS_9f8_fnuz_tEKNS_16TensorDescriptorINS_5TupleIJNS_7UnMergeINS4_IJNS_17integral_constantIiLi4EEENS6_IiLi1EEENS6_IiLi2EEENS6_IiLi32EEEEEELb0EEEEEENS4_IJNS_8SequenceIJLi0EEEEEEENS4_IJNSE_IJLi1ELi2ELi3ELi4EEEEEEESH_NS6_IlLl256EEEEESL_NS_16tensor_operation12element_wise11PassThroughENSE_IJLi4ELi1ELi2ELi32EEEENSE_IJLi1ELi2ELi0ELi3EEEELi3ELi32ELb0EE3RunINS4_IJNS6_IiLi0EEEST_ST_ST_EEESU_NS_12StaticBufferILNS_16AddressSpaceEnumE4ES1_Li256ELb1EEENSV_ILSW_4ES2_Li256ELb1EEEEEvRSL_RKT_RKT1_SZ_RKT0_RT2_, .Lfunc_end5-_ZNK2ck44ThreadwiseTensorSliceTransfer_StaticToStaticINS_7pk_i4_tENS_9f8_fnuz_tEKNS_16TensorDescriptorINS_5TupleIJNS_7UnMergeINS4_IJNS_17integral_constantIiLi4EEENS6_IiLi1EEENS6_IiLi2EEENS6_IiLi32EEEEEELb0EEEEEENS4_IJNS_8SequenceIJLi0EEEEEEENS4_IJNSE_IJLi1ELi2ELi3ELi4EEEEEEESH_NS6_IlLl256EEEEESL_NS_16tensor_operation12element_wise11PassThroughENSE_IJLi4ELi1ELi2ELi32EEEENSE_IJLi1ELi2ELi0ELi3EEEELi3ELi32ELb0EE3RunINS4_IJNS6_IiLi0EEEST_ST_ST_EEESU_NS_12StaticBufferILNS_16AddressSpaceEnumE4ES1_Li256ELb1EEENSV_ILSW_4ES2_Li256ELb1EEEEEvRSL_RKT_RKT1_SZ_RKT0_RT2_
                                        ; -- End function
	.set .L_ZNK2ck44ThreadwiseTensorSliceTransfer_StaticToStaticINS_7pk_i4_tENS_9f8_fnuz_tEKNS_16TensorDescriptorINS_5TupleIJNS_7UnMergeINS4_IJNS_17integral_constantIiLi4EEENS6_IiLi1EEENS6_IiLi2EEENS6_IiLi32EEEEEELb0EEEEEENS4_IJNS_8SequenceIJLi0EEEEEEENS4_IJNSE_IJLi1ELi2ELi3ELi4EEEEEEESH_NS6_IlLl256EEEEESL_NS_16tensor_operation12element_wise11PassThroughENSE_IJLi4ELi1ELi2ELi32EEEENSE_IJLi1ELi2ELi0ELi3EEEELi3ELi32ELb0EE3RunINS4_IJNS6_IiLi0EEEST_ST_ST_EEESU_NS_12StaticBufferILNS_16AddressSpaceEnumE4ES1_Li256ELb1EEENSV_ILSW_4ES2_Li256ELb1EEEEEvRSL_RKT_RKT1_SZ_RKT0_RT2_.num_vgpr, 52
	.set .L_ZNK2ck44ThreadwiseTensorSliceTransfer_StaticToStaticINS_7pk_i4_tENS_9f8_fnuz_tEKNS_16TensorDescriptorINS_5TupleIJNS_7UnMergeINS4_IJNS_17integral_constantIiLi4EEENS6_IiLi1EEENS6_IiLi2EEENS6_IiLi32EEEEEELb0EEEEEENS4_IJNS_8SequenceIJLi0EEEEEEENS4_IJNSE_IJLi1ELi2ELi3ELi4EEEEEEESH_NS6_IlLl256EEEEESL_NS_16tensor_operation12element_wise11PassThroughENSE_IJLi4ELi1ELi2ELi32EEEENSE_IJLi1ELi2ELi0ELi3EEEELi3ELi32ELb0EE3RunINS4_IJNS6_IiLi0EEEST_ST_ST_EEESU_NS_12StaticBufferILNS_16AddressSpaceEnumE4ES1_Li256ELb1EEENSV_ILSW_4ES2_Li256ELb1EEEEEvRSL_RKT_RKT1_SZ_RKT0_RT2_.num_agpr, 0
	.set .L_ZNK2ck44ThreadwiseTensorSliceTransfer_StaticToStaticINS_7pk_i4_tENS_9f8_fnuz_tEKNS_16TensorDescriptorINS_5TupleIJNS_7UnMergeINS4_IJNS_17integral_constantIiLi4EEENS6_IiLi1EEENS6_IiLi2EEENS6_IiLi32EEEEEELb0EEEEEENS4_IJNS_8SequenceIJLi0EEEEEEENS4_IJNSE_IJLi1ELi2ELi3ELi4EEEEEEESH_NS6_IlLl256EEEEESL_NS_16tensor_operation12element_wise11PassThroughENSE_IJLi4ELi1ELi2ELi32EEEENSE_IJLi1ELi2ELi0ELi3EEEELi3ELi32ELb0EE3RunINS4_IJNS6_IiLi0EEEST_ST_ST_EEESU_NS_12StaticBufferILNS_16AddressSpaceEnumE4ES1_Li256ELb1EEENSV_ILSW_4ES2_Li256ELb1EEEEEvRSL_RKT_RKT1_SZ_RKT0_RT2_.numbered_sgpr, 32
	.set .L_ZNK2ck44ThreadwiseTensorSliceTransfer_StaticToStaticINS_7pk_i4_tENS_9f8_fnuz_tEKNS_16TensorDescriptorINS_5TupleIJNS_7UnMergeINS4_IJNS_17integral_constantIiLi4EEENS6_IiLi1EEENS6_IiLi2EEENS6_IiLi32EEEEEELb0EEEEEENS4_IJNS_8SequenceIJLi0EEEEEEENS4_IJNSE_IJLi1ELi2ELi3ELi4EEEEEEESH_NS6_IlLl256EEEEESL_NS_16tensor_operation12element_wise11PassThroughENSE_IJLi4ELi1ELi2ELi32EEEENSE_IJLi1ELi2ELi0ELi3EEEELi3ELi32ELb0EE3RunINS4_IJNS6_IiLi0EEEST_ST_ST_EEESU_NS_12StaticBufferILNS_16AddressSpaceEnumE4ES1_Li256ELb1EEENSV_ILSW_4ES2_Li256ELb1EEEEEvRSL_RKT_RKT1_SZ_RKT0_RT2_.num_named_barrier, 0
	.set .L_ZNK2ck44ThreadwiseTensorSliceTransfer_StaticToStaticINS_7pk_i4_tENS_9f8_fnuz_tEKNS_16TensorDescriptorINS_5TupleIJNS_7UnMergeINS4_IJNS_17integral_constantIiLi4EEENS6_IiLi1EEENS6_IiLi2EEENS6_IiLi32EEEEEELb0EEEEEENS4_IJNS_8SequenceIJLi0EEEEEEENS4_IJNSE_IJLi1ELi2ELi3ELi4EEEEEEESH_NS6_IlLl256EEEEESL_NS_16tensor_operation12element_wise11PassThroughENSE_IJLi4ELi1ELi2ELi32EEEENSE_IJLi1ELi2ELi0ELi3EEEELi3ELi32ELb0EE3RunINS4_IJNS6_IiLi0EEEST_ST_ST_EEESU_NS_12StaticBufferILNS_16AddressSpaceEnumE4ES1_Li256ELb1EEENSV_ILSW_4ES2_Li256ELb1EEEEEvRSL_RKT_RKT1_SZ_RKT0_RT2_.private_seg_size, 0
	.set .L_ZNK2ck44ThreadwiseTensorSliceTransfer_StaticToStaticINS_7pk_i4_tENS_9f8_fnuz_tEKNS_16TensorDescriptorINS_5TupleIJNS_7UnMergeINS4_IJNS_17integral_constantIiLi4EEENS6_IiLi1EEENS6_IiLi2EEENS6_IiLi32EEEEEELb0EEEEEENS4_IJNS_8SequenceIJLi0EEEEEEENS4_IJNSE_IJLi1ELi2ELi3ELi4EEEEEEESH_NS6_IlLl256EEEEESL_NS_16tensor_operation12element_wise11PassThroughENSE_IJLi4ELi1ELi2ELi32EEEENSE_IJLi1ELi2ELi0ELi3EEEELi3ELi32ELb0EE3RunINS4_IJNS6_IiLi0EEEST_ST_ST_EEESU_NS_12StaticBufferILNS_16AddressSpaceEnumE4ES1_Li256ELb1EEENSV_ILSW_4ES2_Li256ELb1EEEEEvRSL_RKT_RKT1_SZ_RKT0_RT2_.uses_vcc, 0
	.set .L_ZNK2ck44ThreadwiseTensorSliceTransfer_StaticToStaticINS_7pk_i4_tENS_9f8_fnuz_tEKNS_16TensorDescriptorINS_5TupleIJNS_7UnMergeINS4_IJNS_17integral_constantIiLi4EEENS6_IiLi1EEENS6_IiLi2EEENS6_IiLi32EEEEEELb0EEEEEENS4_IJNS_8SequenceIJLi0EEEEEEENS4_IJNSE_IJLi1ELi2ELi3ELi4EEEEEEESH_NS6_IlLl256EEEEESL_NS_16tensor_operation12element_wise11PassThroughENSE_IJLi4ELi1ELi2ELi32EEEENSE_IJLi1ELi2ELi0ELi3EEEELi3ELi32ELb0EE3RunINS4_IJNS6_IiLi0EEEST_ST_ST_EEESU_NS_12StaticBufferILNS_16AddressSpaceEnumE4ES1_Li256ELb1EEENSV_ILSW_4ES2_Li256ELb1EEEEEvRSL_RKT_RKT1_SZ_RKT0_RT2_.uses_flat_scratch, 1
	.set .L_ZNK2ck44ThreadwiseTensorSliceTransfer_StaticToStaticINS_7pk_i4_tENS_9f8_fnuz_tEKNS_16TensorDescriptorINS_5TupleIJNS_7UnMergeINS4_IJNS_17integral_constantIiLi4EEENS6_IiLi1EEENS6_IiLi2EEENS6_IiLi32EEEEEELb0EEEEEENS4_IJNS_8SequenceIJLi0EEEEEEENS4_IJNSE_IJLi1ELi2ELi3ELi4EEEEEEESH_NS6_IlLl256EEEEESL_NS_16tensor_operation12element_wise11PassThroughENSE_IJLi4ELi1ELi2ELi32EEEENSE_IJLi1ELi2ELi0ELi3EEEELi3ELi32ELb0EE3RunINS4_IJNS6_IiLi0EEEST_ST_ST_EEESU_NS_12StaticBufferILNS_16AddressSpaceEnumE4ES1_Li256ELb1EEENSV_ILSW_4ES2_Li256ELb1EEEEEvRSL_RKT_RKT1_SZ_RKT0_RT2_.has_dyn_sized_stack, 0
	.set .L_ZNK2ck44ThreadwiseTensorSliceTransfer_StaticToStaticINS_7pk_i4_tENS_9f8_fnuz_tEKNS_16TensorDescriptorINS_5TupleIJNS_7UnMergeINS4_IJNS_17integral_constantIiLi4EEENS6_IiLi1EEENS6_IiLi2EEENS6_IiLi32EEEEEELb0EEEEEENS4_IJNS_8SequenceIJLi0EEEEEEENS4_IJNSE_IJLi1ELi2ELi3ELi4EEEEEEESH_NS6_IlLl256EEEEESL_NS_16tensor_operation12element_wise11PassThroughENSE_IJLi4ELi1ELi2ELi32EEEENSE_IJLi1ELi2ELi0ELi3EEEELi3ELi32ELb0EE3RunINS4_IJNS6_IiLi0EEEST_ST_ST_EEESU_NS_12StaticBufferILNS_16AddressSpaceEnumE4ES1_Li256ELb1EEENSV_ILSW_4ES2_Li256ELb1EEEEEvRSL_RKT_RKT1_SZ_RKT0_RT2_.has_recursion, 0
	.set .L_ZNK2ck44ThreadwiseTensorSliceTransfer_StaticToStaticINS_7pk_i4_tENS_9f8_fnuz_tEKNS_16TensorDescriptorINS_5TupleIJNS_7UnMergeINS4_IJNS_17integral_constantIiLi4EEENS6_IiLi1EEENS6_IiLi2EEENS6_IiLi32EEEEEELb0EEEEEENS4_IJNS_8SequenceIJLi0EEEEEEENS4_IJNSE_IJLi1ELi2ELi3ELi4EEEEEEESH_NS6_IlLl256EEEEESL_NS_16tensor_operation12element_wise11PassThroughENSE_IJLi4ELi1ELi2ELi32EEEENSE_IJLi1ELi2ELi0ELi3EEEELi3ELi32ELb0EE3RunINS4_IJNS6_IiLi0EEEST_ST_ST_EEESU_NS_12StaticBufferILNS_16AddressSpaceEnumE4ES1_Li256ELb1EEENSV_ILSW_4ES2_Li256ELb1EEEEEvRSL_RKT_RKT1_SZ_RKT0_RT2_.has_indirect_call, 0
	.section	.AMDGPU.csdata,"",@progbits
; Function info:
; codeLenInByte = 7676
; TotalNumSgprs: 32
; NumVgprs: 52
; ScratchSize: 0
; MemoryBound: 0
	.text
	.p2align	2                               ; -- Begin function _ZNK2ck52BlockwiseGemmXdlops_pipeline_bpreshuffle_bdequant_v3ILNS_26BlockGemmPipelineSchedulerE0ELi256ENS_9f8_fnuz_tENS_7pk_i4_tES2_fNS_16TensorDescriptorINS_5TupleIJNS_5EmbedINS5_IJNS_17integral_constantIiLi8EEENS7_IiLi256EEENS7_IiLi16EEEEEENS5_IJSA_NS7_IiLi128EEENS7_IiLi1EEEEEELb0EEENS_3XorINS5_IJS9_S8_EEELb1EEENS_11PassThroughISA_EENS_7UnMergeINS5_IJS8_SD_EEELb0EEENSJ_IS9_EESK_NSJ_IS8_EENS_21Merge_v3_division_modINS5_IJS9_SD_EEEEESK_EEENS5_IJNS_8SequenceIJLi0EEEENSU_IJLi2ELi1EEEENSU_IJLi3EEEENSU_IJLi5EEEENSU_IJLi4EEEENSU_IJLi6EEEENSU_IJLi7EEEENSU_IJLi9ELi8EEEENSU_IJLi10EEEEEEENS5_IJNSU_IJLi1ELi2ELi3EEEENSU_IJLi4ELi5EEEES10_NSU_IJLi7ELi8EEEENSU_IJLi9EEEES13_NSU_IJLi11EEEENSU_IJLi12EEEENSU_IJLi13EEEEEEENSU_IJLi11ELi12ELi13EEEENS7_IlLl32768EEEEENS4_INS5_IJNSL_INS5_IJNS7_IiLi4EEESD_NS7_IiLi2EEENS7_IiLi32EEEEEELb0EEEEEENS5_IJSV_EEENS5_IJNSU_IJLi1ELi2ELi3ELi4EEEEEEES1N_NS7_IlLl256EEEEENS4_INS5_IJSF_SI_SK_SN_SO_SK_SP_SS_SK_NSQ_INS5_IJS8_SA_EEEEENSL_INS5_IJS8_S1H_SA_EEELb0EEEEEENS5_IJSV_SW_SX_SY_SZ_S10_S11_S12_S13_NSU_IJLi11ELi13EEEES1A_EEENS5_IJS15_S16_S10_S17_S18_S13_S19_S1A_S1B_NSU_IJLi14EEEENSU_IJLi15ELi16ELi17EEEEEEENSU_IJLi15ELi16ELi17ELi14EEEES1E_EENS4_INS5_IJS1K_NSQ_INS5_IJS1G_S1H_EEEEENSL_INS5_IJS1G_S1G_SA_EEELb0EEEEEENS5_IJSV_NSU_IJLi1ELi3EEEENSU_IJLi2EEEEEEENS5_IJS1N_SY_NSU_IJLi6ELi7ELi8EEEEEEENSU_IJLi6ELi7ELi8ELi5EEEES1P_EELi16ELi32ELi256ELi256ELi128ELi16ELi16ELi8ELi4ELi32ELb0EE3RunILb1ELNS_10TailNumberE0ENS4_INS5_IJNS6_INS5_IJiiEEENS5_IJiSD_EEELb0EEENSL_IS2I_Lb0EEENSJ_IiEEEEENS5_IJSV_S29_NSU_IJLi1EEEEEEENS5_IJNSU_IJLi1ELi2EEEENSU_IJLi3ELi4EEEESY_EEENSU_IJLi3ELi5ELi4EEEElEES1F_NS_35ThreadGroupTensorSliceTransfer_v4r1INS_15ThisThreadBlockILi256EEENS_16tensor_operation12element_wise11PassThroughES30_LNS_25InMemoryDataOperationEnumE0ENSU_IJLi8ELi256ELi16EEEENSU_IJLi8ELi32ELi1EEEENSU_IJLi1ELi0ELi2EEEES2_S2_RKS2U_KS1F_S34_NSU_IJLi0ELi1ELi2EEEELi2ELi2ELi16ELi16ELi1ELi1ELb0ELb1ELi2EiEENS_13DynamicBufferILNS_16AddressSpaceEnumE1EKS2_lLb1ELNS_22AmdBufferCoherenceEnumE0EiEENS5_IJNS3A_ILS3B_2ES2_S1E_Lb1ELS3D_0EiEES3F_EEENS5_IJiiiEEENS4_INS5_IJNS6_INS5_IJiiiiEEENS5_IJiiiSD_EEELb0EEEEEES1M_S1O_S1N_lEENS_32ThreadwiseTensorSliceTransfer_v2IS3_S3_RKS3M_KS1Q_NSU_IJLi4ELi1ELi2ELi32EEEENSU_IJLi1ELi2ELi0ELi3EEEELi3ELi32ELi0ELb1ELb0ELb0EEENS3A_ILS3B_1EKS3_lLb1ELS3D_0EiEENS5_IJNS_12StaticBufferILS3B_4ES3_Li256ELb1EEES3X_EEES3I_NS_25StaticBufferTupleOfVectorILS3B_4EfLi32ELi8ELb1ELb0EEEEEvRKT1_RKT2_RT3_RKT4_RT5_RKT6_RKT7_RT8_RKT9_RT10_RKT11_RT12_i
	.type	_ZNK2ck52BlockwiseGemmXdlops_pipeline_bpreshuffle_bdequant_v3ILNS_26BlockGemmPipelineSchedulerE0ELi256ENS_9f8_fnuz_tENS_7pk_i4_tES2_fNS_16TensorDescriptorINS_5TupleIJNS_5EmbedINS5_IJNS_17integral_constantIiLi8EEENS7_IiLi256EEENS7_IiLi16EEEEEENS5_IJSA_NS7_IiLi128EEENS7_IiLi1EEEEEELb0EEENS_3XorINS5_IJS9_S8_EEELb1EEENS_11PassThroughISA_EENS_7UnMergeINS5_IJS8_SD_EEELb0EEENSJ_IS9_EESK_NSJ_IS8_EENS_21Merge_v3_division_modINS5_IJS9_SD_EEEEESK_EEENS5_IJNS_8SequenceIJLi0EEEENSU_IJLi2ELi1EEEENSU_IJLi3EEEENSU_IJLi5EEEENSU_IJLi4EEEENSU_IJLi6EEEENSU_IJLi7EEEENSU_IJLi9ELi8EEEENSU_IJLi10EEEEEEENS5_IJNSU_IJLi1ELi2ELi3EEEENSU_IJLi4ELi5EEEES10_NSU_IJLi7ELi8EEEENSU_IJLi9EEEES13_NSU_IJLi11EEEENSU_IJLi12EEEENSU_IJLi13EEEEEEENSU_IJLi11ELi12ELi13EEEENS7_IlLl32768EEEEENS4_INS5_IJNSL_INS5_IJNS7_IiLi4EEESD_NS7_IiLi2EEENS7_IiLi32EEEEEELb0EEEEEENS5_IJSV_EEENS5_IJNSU_IJLi1ELi2ELi3ELi4EEEEEEES1N_NS7_IlLl256EEEEENS4_INS5_IJSF_SI_SK_SN_SO_SK_SP_SS_SK_NSQ_INS5_IJS8_SA_EEEEENSL_INS5_IJS8_S1H_SA_EEELb0EEEEEENS5_IJSV_SW_SX_SY_SZ_S10_S11_S12_S13_NSU_IJLi11ELi13EEEES1A_EEENS5_IJS15_S16_S10_S17_S18_S13_S19_S1A_S1B_NSU_IJLi14EEEENSU_IJLi15ELi16ELi17EEEEEEENSU_IJLi15ELi16ELi17ELi14EEEES1E_EENS4_INS5_IJS1K_NSQ_INS5_IJS1G_S1H_EEEEENSL_INS5_IJS1G_S1G_SA_EEELb0EEEEEENS5_IJSV_NSU_IJLi1ELi3EEEENSU_IJLi2EEEEEEENS5_IJS1N_SY_NSU_IJLi6ELi7ELi8EEEEEEENSU_IJLi6ELi7ELi8ELi5EEEES1P_EELi16ELi32ELi256ELi256ELi128ELi16ELi16ELi8ELi4ELi32ELb0EE3RunILb1ELNS_10TailNumberE0ENS4_INS5_IJNS6_INS5_IJiiEEENS5_IJiSD_EEELb0EEENSL_IS2I_Lb0EEENSJ_IiEEEEENS5_IJSV_S29_NSU_IJLi1EEEEEEENS5_IJNSU_IJLi1ELi2EEEENSU_IJLi3ELi4EEEESY_EEENSU_IJLi3ELi5ELi4EEEElEES1F_NS_35ThreadGroupTensorSliceTransfer_v4r1INS_15ThisThreadBlockILi256EEENS_16tensor_operation12element_wise11PassThroughES30_LNS_25InMemoryDataOperationEnumE0ENSU_IJLi8ELi256ELi16EEEENSU_IJLi8ELi32ELi1EEEENSU_IJLi1ELi0ELi2EEEES2_S2_RKS2U_KS1F_S34_NSU_IJLi0ELi1ELi2EEEELi2ELi2ELi16ELi16ELi1ELi1ELb0ELb1ELi2EiEENS_13DynamicBufferILNS_16AddressSpaceEnumE1EKS2_lLb1ELNS_22AmdBufferCoherenceEnumE0EiEENS5_IJNS3A_ILS3B_2ES2_S1E_Lb1ELS3D_0EiEES3F_EEENS5_IJiiiEEENS4_INS5_IJNS6_INS5_IJiiiiEEENS5_IJiiiSD_EEELb0EEEEEES1M_S1O_S1N_lEENS_32ThreadwiseTensorSliceTransfer_v2IS3_S3_RKS3M_KS1Q_NSU_IJLi4ELi1ELi2ELi32EEEENSU_IJLi1ELi2ELi0ELi3EEEELi3ELi32ELi0ELb1ELb0ELb0EEENS3A_ILS3B_1EKS3_lLb1ELS3D_0EiEENS5_IJNS_12StaticBufferILS3B_4ES3_Li256ELb1EEES3X_EEES3I_NS_25StaticBufferTupleOfVectorILS3B_4EfLi32ELi8ELb1ELb0EEEEEvRKT1_RKT2_RT3_RKT4_RT5_RKT6_RKT7_RT8_RKT9_RT10_RKT11_RT12_i,@function
_ZNK2ck52BlockwiseGemmXdlops_pipeline_bpreshuffle_bdequant_v3ILNS_26BlockGemmPipelineSchedulerE0ELi256ENS_9f8_fnuz_tENS_7pk_i4_tES2_fNS_16TensorDescriptorINS_5TupleIJNS_5EmbedINS5_IJNS_17integral_constantIiLi8EEENS7_IiLi256EEENS7_IiLi16EEEEEENS5_IJSA_NS7_IiLi128EEENS7_IiLi1EEEEEELb0EEENS_3XorINS5_IJS9_S8_EEELb1EEENS_11PassThroughISA_EENS_7UnMergeINS5_IJS8_SD_EEELb0EEENSJ_IS9_EESK_NSJ_IS8_EENS_21Merge_v3_division_modINS5_IJS9_SD_EEEEESK_EEENS5_IJNS_8SequenceIJLi0EEEENSU_IJLi2ELi1EEEENSU_IJLi3EEEENSU_IJLi5EEEENSU_IJLi4EEEENSU_IJLi6EEEENSU_IJLi7EEEENSU_IJLi9ELi8EEEENSU_IJLi10EEEEEEENS5_IJNSU_IJLi1ELi2ELi3EEEENSU_IJLi4ELi5EEEES10_NSU_IJLi7ELi8EEEENSU_IJLi9EEEES13_NSU_IJLi11EEEENSU_IJLi12EEEENSU_IJLi13EEEEEEENSU_IJLi11ELi12ELi13EEEENS7_IlLl32768EEEEENS4_INS5_IJNSL_INS5_IJNS7_IiLi4EEESD_NS7_IiLi2EEENS7_IiLi32EEEEEELb0EEEEEENS5_IJSV_EEENS5_IJNSU_IJLi1ELi2ELi3ELi4EEEEEEES1N_NS7_IlLl256EEEEENS4_INS5_IJSF_SI_SK_SN_SO_SK_SP_SS_SK_NSQ_INS5_IJS8_SA_EEEEENSL_INS5_IJS8_S1H_SA_EEELb0EEEEEENS5_IJSV_SW_SX_SY_SZ_S10_S11_S12_S13_NSU_IJLi11ELi13EEEES1A_EEENS5_IJS15_S16_S10_S17_S18_S13_S19_S1A_S1B_NSU_IJLi14EEEENSU_IJLi15ELi16ELi17EEEEEEENSU_IJLi15ELi16ELi17ELi14EEEES1E_EENS4_INS5_IJS1K_NSQ_INS5_IJS1G_S1H_EEEEENSL_INS5_IJS1G_S1G_SA_EEELb0EEEEEENS5_IJSV_NSU_IJLi1ELi3EEEENSU_IJLi2EEEEEEENS5_IJS1N_SY_NSU_IJLi6ELi7ELi8EEEEEEENSU_IJLi6ELi7ELi8ELi5EEEES1P_EELi16ELi32ELi256ELi256ELi128ELi16ELi16ELi8ELi4ELi32ELb0EE3RunILb1ELNS_10TailNumberE0ENS4_INS5_IJNS6_INS5_IJiiEEENS5_IJiSD_EEELb0EEENSL_IS2I_Lb0EEENSJ_IiEEEEENS5_IJSV_S29_NSU_IJLi1EEEEEEENS5_IJNSU_IJLi1ELi2EEEENSU_IJLi3ELi4EEEESY_EEENSU_IJLi3ELi5ELi4EEEElEES1F_NS_35ThreadGroupTensorSliceTransfer_v4r1INS_15ThisThreadBlockILi256EEENS_16tensor_operation12element_wise11PassThroughES30_LNS_25InMemoryDataOperationEnumE0ENSU_IJLi8ELi256ELi16EEEENSU_IJLi8ELi32ELi1EEEENSU_IJLi1ELi0ELi2EEEES2_S2_RKS2U_KS1F_S34_NSU_IJLi0ELi1ELi2EEEELi2ELi2ELi16ELi16ELi1ELi1ELb0ELb1ELi2EiEENS_13DynamicBufferILNS_16AddressSpaceEnumE1EKS2_lLb1ELNS_22AmdBufferCoherenceEnumE0EiEENS5_IJNS3A_ILS3B_2ES2_S1E_Lb1ELS3D_0EiEES3F_EEENS5_IJiiiEEENS4_INS5_IJNS6_INS5_IJiiiiEEENS5_IJiiiSD_EEELb0EEEEEES1M_S1O_S1N_lEENS_32ThreadwiseTensorSliceTransfer_v2IS3_S3_RKS3M_KS1Q_NSU_IJLi4ELi1ELi2ELi32EEEENSU_IJLi1ELi2ELi0ELi3EEEELi3ELi32ELi0ELb1ELb0ELb0EEENS3A_ILS3B_1EKS3_lLb1ELS3D_0EiEENS5_IJNS_12StaticBufferILS3B_4ES3_Li256ELb1EEES3X_EEES3I_NS_25StaticBufferTupleOfVectorILS3B_4EfLi32ELi8ELb1ELb0EEEEEvRKT1_RKT2_RT3_RKT4_RT5_RKT6_RKT7_RT8_RKT9_RT10_RKT11_RT12_i: ; @_ZNK2ck52BlockwiseGemmXdlops_pipeline_bpreshuffle_bdequant_v3ILNS_26BlockGemmPipelineSchedulerE0ELi256ENS_9f8_fnuz_tENS_7pk_i4_tES2_fNS_16TensorDescriptorINS_5TupleIJNS_5EmbedINS5_IJNS_17integral_constantIiLi8EEENS7_IiLi256EEENS7_IiLi16EEEEEENS5_IJSA_NS7_IiLi128EEENS7_IiLi1EEEEEELb0EEENS_3XorINS5_IJS9_S8_EEELb1EEENS_11PassThroughISA_EENS_7UnMergeINS5_IJS8_SD_EEELb0EEENSJ_IS9_EESK_NSJ_IS8_EENS_21Merge_v3_division_modINS5_IJS9_SD_EEEEESK_EEENS5_IJNS_8SequenceIJLi0EEEENSU_IJLi2ELi1EEEENSU_IJLi3EEEENSU_IJLi5EEEENSU_IJLi4EEEENSU_IJLi6EEEENSU_IJLi7EEEENSU_IJLi9ELi8EEEENSU_IJLi10EEEEEEENS5_IJNSU_IJLi1ELi2ELi3EEEENSU_IJLi4ELi5EEEES10_NSU_IJLi7ELi8EEEENSU_IJLi9EEEES13_NSU_IJLi11EEEENSU_IJLi12EEEENSU_IJLi13EEEEEEENSU_IJLi11ELi12ELi13EEEENS7_IlLl32768EEEEENS4_INS5_IJNSL_INS5_IJNS7_IiLi4EEESD_NS7_IiLi2EEENS7_IiLi32EEEEEELb0EEEEEENS5_IJSV_EEENS5_IJNSU_IJLi1ELi2ELi3ELi4EEEEEEES1N_NS7_IlLl256EEEEENS4_INS5_IJSF_SI_SK_SN_SO_SK_SP_SS_SK_NSQ_INS5_IJS8_SA_EEEEENSL_INS5_IJS8_S1H_SA_EEELb0EEEEEENS5_IJSV_SW_SX_SY_SZ_S10_S11_S12_S13_NSU_IJLi11ELi13EEEES1A_EEENS5_IJS15_S16_S10_S17_S18_S13_S19_S1A_S1B_NSU_IJLi14EEEENSU_IJLi15ELi16ELi17EEEEEEENSU_IJLi15ELi16ELi17ELi14EEEES1E_EENS4_INS5_IJS1K_NSQ_INS5_IJS1G_S1H_EEEEENSL_INS5_IJS1G_S1G_SA_EEELb0EEEEEENS5_IJSV_NSU_IJLi1ELi3EEEENSU_IJLi2EEEEEEENS5_IJS1N_SY_NSU_IJLi6ELi7ELi8EEEEEEENSU_IJLi6ELi7ELi8ELi5EEEES1P_EELi16ELi32ELi256ELi256ELi128ELi16ELi16ELi8ELi4ELi32ELb0EE3RunILb1ELNS_10TailNumberE0ENS4_INS5_IJNS6_INS5_IJiiEEENS5_IJiSD_EEELb0EEENSL_IS2I_Lb0EEENSJ_IiEEEEENS5_IJSV_S29_NSU_IJLi1EEEEEEENS5_IJNSU_IJLi1ELi2EEEENSU_IJLi3ELi4EEEESY_EEENSU_IJLi3ELi5ELi4EEEElEES1F_NS_35ThreadGroupTensorSliceTransfer_v4r1INS_15ThisThreadBlockILi256EEENS_16tensor_operation12element_wise11PassThroughES30_LNS_25InMemoryDataOperationEnumE0ENSU_IJLi8ELi256ELi16EEEENSU_IJLi8ELi32ELi1EEEENSU_IJLi1ELi0ELi2EEEES2_S2_RKS2U_KS1F_S34_NSU_IJLi0ELi1ELi2EEEELi2ELi2ELi16ELi16ELi1ELi1ELb0ELb1ELi2EiEENS_13DynamicBufferILNS_16AddressSpaceEnumE1EKS2_lLb1ELNS_22AmdBufferCoherenceEnumE0EiEENS5_IJNS3A_ILS3B_2ES2_S1E_Lb1ELS3D_0EiEES3F_EEENS5_IJiiiEEENS4_INS5_IJNS6_INS5_IJiiiiEEENS5_IJiiiSD_EEELb0EEEEEES1M_S1O_S1N_lEENS_32ThreadwiseTensorSliceTransfer_v2IS3_S3_RKS3M_KS1Q_NSU_IJLi4ELi1ELi2ELi32EEEENSU_IJLi1ELi2ELi0ELi3EEEELi3ELi32ELi0ELb1ELb0ELb0EEENS3A_ILS3B_1EKS3_lLb1ELS3D_0EiEENS5_IJNS_12StaticBufferILS3B_4ES3_Li256ELb1EEES3X_EEES3I_NS_25StaticBufferTupleOfVectorILS3B_4EfLi32ELi8ELb1ELb0EEEEEvRKT1_RKT2_RT3_RKT4_RT5_RKT6_RKT7_RT8_RKT9_RT10_RKT11_RT12_i
; %bb.0:
	s_wait_loadcnt_dscnt 0x0
	s_wait_expcnt 0x0
	s_wait_samplecnt 0x0
	s_wait_bvhcnt 0x0
	s_wait_kmcnt 0x0
	s_mov_b32 s13, s33
	s_mov_b32 s33, s32
	s_or_saveexec_b32 s0, -1
	scratch_store_b32 off, v40, s33 offset:1024 ; 4-byte Folded Spill
	s_wait_alu 0xfffe
	s_mov_b32 exec_lo, s0
	v_writelane_b32 v40, s30, 0
	s_addk_co_i32 s32, 0x410
	v_writelane_b32 v40, s31, 1
	v_dual_mov_b32 v53, v21 :: v_dual_mov_b32 v52, v20
	v_dual_mov_b32 v67, v19 :: v_dual_mov_b32 v66, v18
	;; [unrolled: 1-line block ×11, first 2 shown]
	; sched_barrier mask(0x00000000)
	flat_load_b128 v[0:3], v[70:71]
	s_clause 0x1
	flat_load_b128 v[4:7], v[68:69]
	flat_load_b64 v[8:9], v[68:69]
	s_mov_b32 s0, 0
	s_wait_alu 0xfffe
	s_mov_b32 s3, s0
	s_mov_b32 s1, s0
	;; [unrolled: 1-line block ×3, first 2 shown]
	s_wait_alu 0xfffe
	v_dual_mov_b32 v15, s3 :: v_dual_mov_b32 v14, s2
	v_dual_mov_b32 v13, s1 :: v_dual_mov_b32 v12, s0
	s_mov_b32 s1, exec_lo
	s_clause 0x1f
	scratch_store_b128 off, v[12:15], s33 offset:496
	scratch_store_b128 off, v[12:15], s33 offset:480
	;; [unrolled: 1-line block ×32, first 2 shown]
	s_clause 0x1e
	scratch_store_b128 off, v[12:15], s33 offset:992
	scratch_store_b128 off, v[12:15], s33 offset:976
	;; [unrolled: 1-line block ×31, first 2 shown]
	s_wait_loadcnt_dscnt 0x202
	v_lshrrev_b32_e32 v10, 31, v0
	s_wait_loadcnt_dscnt 0x101
	v_lshrrev_b32_e32 v16, 31, v7
	v_mov_b32_e32 v11, 0x31004000
	s_wait_loadcnt_dscnt 0x0
	v_and_b32_e32 v9, 0xffff, v9
	v_add_nc_u32_e32 v10, v0, v10
	v_add_co_u32 v16, vcc_lo, v6, v16
	s_wait_alu 0xfffd
	v_add_co_ci_u32_e64 v7, null, 0, v7, vcc_lo
	s_delay_alu instid0(VALU_DEP_3) | instskip(NEXT) | instid1(VALU_DEP_2)
	v_ashrrev_i32_e32 v6, 1, v10
	v_alignbit_b32 v10, v7, v16, 1
.LBB6_1:                                ; =>This Inner Loop Header: Depth=1
	v_readfirstlane_b32 s4, v8
	v_readfirstlane_b32 s5, v9
	s_delay_alu instid0(VALU_DEP_3) | instskip(SKIP_2) | instid1(VALU_DEP_3)
	v_readfirstlane_b32 s6, v10
	v_readfirstlane_b32 s7, v11
	s_wait_alu 0xf1ff
	v_cmp_eq_u64_e32 vcc_lo, s[4:5], v[8:9]
	s_delay_alu instid0(VALU_DEP_2)
	v_cmp_eq_u64_e64 s0, s[6:7], v[10:11]
	s_and_b32 s0, vcc_lo, s0
	s_wait_alu 0xfffe
	s_and_saveexec_b32 s0, s0
	s_wait_loadcnt 0x0
	buffer_load_b128 v[12:15], v6, s[4:7], null offen
                                        ; implicit-def: $vgpr6
	s_xor_b32 exec_lo, exec_lo, s0
	s_cbranch_execnz .LBB6_1
; %bb.2:
	s_mov_b32 exec_lo, s1
	v_add_nc_u32_e32 v6, 1, v1
	s_mov_b32 s1, exec_lo
	s_wait_loadcnt 0x0
	scratch_store_b128 off, v[12:15], s33
	flat_store_b32 v[70:71], v6 offset:4
	flat_load_b32 v7, v[80:81] offset:16
	s_wait_loadcnt_dscnt 0x0
	v_add_nc_u32_e32 v7, v7, v0
	s_delay_alu instid0(VALU_DEP_1) | instskip(SKIP_2) | instid1(VALU_DEP_1)
	v_lshrrev_b32_e32 v0, 31, v7
	flat_store_b32 v[70:71], v7
	v_add_nc_u32_e32 v0, v7, v0
	v_ashrrev_i32_e32 v0, 1, v0
.LBB6_3:                                ; =>This Inner Loop Header: Depth=1
	v_readfirstlane_b32 s4, v8
	v_readfirstlane_b32 s5, v9
	;; [unrolled: 1-line block ×4, first 2 shown]
	s_wait_alu 0xf1ff
	s_delay_alu instid0(VALU_DEP_3) | instskip(NEXT) | instid1(VALU_DEP_2)
	v_cmp_eq_u64_e32 vcc_lo, s[4:5], v[8:9]
	v_cmp_eq_u64_e64 s0, s[6:7], v[10:11]
	s_and_b32 s0, vcc_lo, s0
	s_wait_alu 0xfffe
	s_and_saveexec_b32 s0, s0
	s_wait_loadcnt 0x0
	buffer_load_b128 v[12:15], v0, s[4:7], null offen
                                        ; implicit-def: $vgpr0
	s_xor_b32 exec_lo, exec_lo, s0
	s_cbranch_execnz .LBB6_3
; %bb.4:
	s_mov_b32 exec_lo, s1
	v_add_nc_u32_e32 v0, 2, v1
	s_mov_b32 s1, exec_lo
	s_wait_loadcnt 0x0
	scratch_store_b128 off, v[12:15], s33 offset:64
	flat_store_b32 v[70:71], v0 offset:4
	flat_load_b32 v16, v[80:81] offset:16
	s_wait_loadcnt_dscnt 0x0
	v_add_nc_u32_e32 v7, v16, v7
	s_delay_alu instid0(VALU_DEP_1) | instskip(SKIP_2) | instid1(VALU_DEP_1)
	v_lshrrev_b32_e32 v16, 31, v7
	flat_store_b32 v[70:71], v7
	v_add_nc_u32_e32 v16, v7, v16
	v_ashrrev_i32_e32 v16, 1, v16
.LBB6_5:                                ; =>This Inner Loop Header: Depth=1
	v_readfirstlane_b32 s4, v8
	v_readfirstlane_b32 s5, v9
	v_readfirstlane_b32 s6, v10
	v_readfirstlane_b32 s7, v11
	s_wait_alu 0xf1ff
	s_delay_alu instid0(VALU_DEP_3) | instskip(NEXT) | instid1(VALU_DEP_2)
	v_cmp_eq_u64_e32 vcc_lo, s[4:5], v[8:9]
	v_cmp_eq_u64_e64 s0, s[6:7], v[10:11]
	s_and_b32 s0, vcc_lo, s0
	s_wait_alu 0xfffe
	s_and_saveexec_b32 s0, s0
	s_wait_loadcnt 0x0
	buffer_load_b128 v[12:15], v16, s[4:7], null offen
                                        ; implicit-def: $vgpr16
	s_xor_b32 exec_lo, exec_lo, s0
	s_cbranch_execnz .LBB6_5
; %bb.6:
	s_mov_b32 exec_lo, s1
	v_add_nc_u32_e32 v16, 3, v1
	s_mov_b32 s1, exec_lo
	s_wait_loadcnt 0x0
	scratch_store_b128 off, v[12:15], s33 offset:128
	flat_store_b32 v[70:71], v16 offset:4
	flat_load_b32 v16, v[80:81] offset:16
	s_wait_loadcnt_dscnt 0x0
	v_add_nc_u32_e32 v7, v16, v7
	s_delay_alu instid0(VALU_DEP_1) | instskip(SKIP_2) | instid1(VALU_DEP_1)
	v_lshrrev_b32_e32 v16, 31, v7
	flat_store_b32 v[70:71], v7
	v_add_nc_u32_e32 v16, v7, v16
	v_ashrrev_i32_e32 v16, 1, v16
.LBB6_7:                                ; =>This Inner Loop Header: Depth=1
	v_readfirstlane_b32 s4, v8
	v_readfirstlane_b32 s5, v9
	v_readfirstlane_b32 s6, v10
	v_readfirstlane_b32 s7, v11
	s_wait_alu 0xf1ff
	s_delay_alu instid0(VALU_DEP_3) | instskip(NEXT) | instid1(VALU_DEP_2)
	v_cmp_eq_u64_e32 vcc_lo, s[4:5], v[8:9]
	v_cmp_eq_u64_e64 s0, s[6:7], v[10:11]
	s_and_b32 s0, vcc_lo, s0
	s_wait_alu 0xfffe
	s_and_saveexec_b32 s0, s0
	s_wait_loadcnt 0x0
	buffer_load_b128 v[12:15], v16, s[4:7], null offen
                                        ; implicit-def: $vgpr16
	s_xor_b32 exec_lo, exec_lo, s0
	s_cbranch_execnz .LBB6_7
	;; [unrolled: 32-line block ×3, first 2 shown]
; %bb.10:
	s_mov_b32 exec_lo, s1
	flat_store_b32 v[70:71], v0 offset:4
	flat_load_b32 v0, v[80:81] offset:16
	s_mov_b32 s1, exec_lo
	s_wait_loadcnt 0x1
	scratch_store_b128 off, v[12:15], s33 offset:224
	s_wait_loadcnt_dscnt 0x0
	v_sub_nc_u32_e32 v0, v7, v0
	s_delay_alu instid0(VALU_DEP_1) | instskip(SKIP_2) | instid1(VALU_DEP_1)
	v_lshrrev_b32_e32 v7, 31, v0
	flat_store_b32 v[70:71], v0
	v_add_nc_u32_e32 v7, v0, v7
	v_ashrrev_i32_e32 v7, 1, v7
.LBB6_11:                               ; =>This Inner Loop Header: Depth=1
	v_readfirstlane_b32 s4, v8
	v_readfirstlane_b32 s5, v9
	;; [unrolled: 1-line block ×4, first 2 shown]
	s_wait_alu 0xf1ff
	s_delay_alu instid0(VALU_DEP_3) | instskip(NEXT) | instid1(VALU_DEP_2)
	v_cmp_eq_u64_e32 vcc_lo, s[4:5], v[8:9]
	v_cmp_eq_u64_e64 s0, s[6:7], v[10:11]
	s_and_b32 s0, vcc_lo, s0
	s_wait_alu 0xfffe
	s_and_saveexec_b32 s0, s0
	s_wait_loadcnt 0x0
	buffer_load_b128 v[12:15], v7, s[4:7], null offen
                                        ; implicit-def: $vgpr8_vgpr9_vgpr10_vgpr11
                                        ; implicit-def: $vgpr7
	s_xor_b32 exec_lo, exec_lo, s0
	s_cbranch_execnz .LBB6_11
; %bb.12:
	s_mov_b32 exec_lo, s1
	flat_store_b32 v[70:71], v6 offset:4
	flat_load_b32 v8, v[80:81] offset:16
	flat_load_b64 v[6:7], v[68:69] offset:8
	v_and_b32_e32 v5, 0xffff, v5
	s_mov_b32 s1, exec_lo
	s_wait_loadcnt 0x2
	scratch_store_b128 off, v[12:15], s33 offset:160
	s_wait_loadcnt_dscnt 0x101
	v_sub_nc_u32_e32 v0, v0, v8
	s_wait_loadcnt_dscnt 0x0
	v_lshrrev_b32_e32 v8, 31, v7
	s_delay_alu instid0(VALU_DEP_2) | instskip(NEXT) | instid1(VALU_DEP_2)
	v_lshrrev_b32_e32 v9, 31, v0
	v_add_co_u32 v6, vcc_lo, v6, v8
	s_wait_alu 0xfffd
	v_add_co_ci_u32_e64 v7, null, 0, v7, vcc_lo
	s_delay_alu instid0(VALU_DEP_3)
	v_add_nc_u32_e32 v8, v0, v9
	flat_store_b32 v[70:71], v0
	v_alignbit_b32 v6, v7, v6, 1
	v_mov_b32_e32 v7, 0x31004000
	v_ashrrev_i32_e32 v16, 1, v8
.LBB6_13:                               ; =>This Inner Loop Header: Depth=1
	v_readfirstlane_b32 s4, v4
	v_readfirstlane_b32 s5, v5
	v_readfirstlane_b32 s6, v6
	v_readfirstlane_b32 s7, v7
	s_wait_alu 0xf1ff
	s_delay_alu instid0(VALU_DEP_3) | instskip(NEXT) | instid1(VALU_DEP_2)
	v_cmp_eq_u64_e32 vcc_lo, s[4:5], v[4:5]
	v_cmp_eq_u64_e64 s0, s[6:7], v[6:7]
	s_and_b32 s0, vcc_lo, s0
	s_wait_alu 0xfffe
	s_and_saveexec_b32 s0, s0
	s_wait_loadcnt 0x0
	buffer_load_b128 v[8:11], v16, s[4:7], null offen
                                        ; implicit-def: $vgpr16
	s_xor_b32 exec_lo, exec_lo, s0
	s_cbranch_execnz .LBB6_13
; %bb.14:
	s_mov_b32 exec_lo, s1
	flat_store_b32 v[70:71], v1 offset:4
	flat_load_b32 v12, v[80:81] offset:16
	s_mov_b32 s1, exec_lo
	s_wait_loadcnt 0x1
	scratch_store_b128 off, v[8:11], s33 offset:96
	s_wait_loadcnt_dscnt 0x0
	v_sub_nc_u32_e32 v0, v0, v12
	s_delay_alu instid0(VALU_DEP_1) | instskip(SKIP_2) | instid1(VALU_DEP_1)
	v_lshrrev_b32_e32 v12, 31, v0
	flat_store_b32 v[70:71], v0
	v_add_nc_u32_e32 v12, v0, v12
	v_ashrrev_i32_e32 v12, 1, v12
.LBB6_15:                               ; =>This Inner Loop Header: Depth=1
	v_readfirstlane_b32 s4, v4
	v_readfirstlane_b32 s5, v5
	;; [unrolled: 1-line block ×4, first 2 shown]
	s_wait_alu 0xf1ff
	s_delay_alu instid0(VALU_DEP_3) | instskip(NEXT) | instid1(VALU_DEP_2)
	v_cmp_eq_u64_e32 vcc_lo, s[4:5], v[4:5]
	v_cmp_eq_u64_e64 s0, s[6:7], v[6:7]
	s_and_b32 s0, vcc_lo, s0
	s_wait_alu 0xfffe
	s_and_saveexec_b32 s0, s0
	s_wait_loadcnt 0x0
	buffer_load_b128 v[8:11], v12, s[4:7], null offen
                                        ; implicit-def: $vgpr4_vgpr5_vgpr6_vgpr7
                                        ; implicit-def: $vgpr12
	s_xor_b32 exec_lo, exec_lo, s0
	s_cbranch_execnz .LBB6_15
; %bb.16:
	s_mov_b32 exec_lo, s1
	flat_store_b32 v[70:71], v3 offset:12
	flat_load_b32 v4, v[80:81] offset:24
	s_mov_b32 s0, exec_lo
	s_wait_loadcnt_dscnt 0x0
	v_sub_nc_u32_e32 v0, v0, v4
	flat_store_b32 v[70:71], v0
	flat_load_b128 v[4:7], v[66:67]
	flat_load_b32 v15, v[70:71] offset:16
	s_wait_loadcnt_dscnt 0x101
	v_or_b32_e32 v12, v5, v4
	v_add_nc_u32_e32 v13, v2, v5
	v_add_nc_u32_e32 v14, v6, v3
	s_wait_loadcnt_dscnt 0x0
	v_add_nc_u32_e32 v15, v15, v7
	v_or3_b32 v16, v12, v6, v7
	v_add_nc_u32_e32 v12, v4, v1
	scratch_store_b128 off, v[8:11], s33 offset:32
	flat_store_b128 v[70:71], v[12:15] offset:4
	v_cmpx_ne_u32_e32 0, v16
	s_cbranch_execz .LBB6_18
; %bb.17:
	flat_load_b96 v[1:3], v[80:81] offset:16
	s_wait_loadcnt_dscnt 0x0
	v_mul_lo_u32 v1, v1, v4
	v_mul_lo_u32 v2, v2, v5
	;; [unrolled: 1-line block ×3, first 2 shown]
	s_delay_alu instid0(VALU_DEP_3) | instskip(NEXT) | instid1(VALU_DEP_1)
	v_add3_u32 v0, v0, v7, v1
	v_add3_u32 v0, v0, v2, v3
	flat_store_b32 v[70:71], v0
.LBB6_18:
	s_wait_alu 0xfffe
	s_or_b32 exec_lo, exec_lo, s0
	v_mov_b32_e32 v13, 1
	s_mov_b32 s1, exec_lo
	flat_store_b8 v[86:87], v13 offset:288
	flat_load_b128 v[0:3], v[84:85]
	flat_load_b64 v[11:12], v[86:87] offset:704
	s_wait_loadcnt_dscnt 0x101
	v_mov_b32_e32 v3, 0x31004000
	v_and_b32_e32 v1, 0xffff, v1
.LBB6_19:                               ; =>This Inner Loop Header: Depth=1
	v_readfirstlane_b32 s4, v0
	s_delay_alu instid0(VALU_DEP_2) | instskip(SKIP_3) | instid1(VALU_DEP_3)
	v_readfirstlane_b32 s5, v1
	v_readfirstlane_b32 s6, v2
	;; [unrolled: 1-line block ×3, first 2 shown]
	s_wait_alu 0xf1ff
	v_cmp_eq_u64_e32 vcc_lo, s[4:5], v[0:1]
	s_delay_alu instid0(VALU_DEP_2)
	v_cmp_eq_u64_e64 s0, s[6:7], v[2:3]
	s_and_b32 s0, vcc_lo, s0
	s_wait_alu 0xfffe
	s_and_saveexec_b32 s0, s0
	s_wait_loadcnt_dscnt 0x0
	buffer_load_b128 v[4:7], v11, s[4:7], null offen
                                        ; implicit-def: $vgpr0_vgpr1_vgpr2_vgpr3
	s_xor_b32 exec_lo, exec_lo, s0
	s_cbranch_execnz .LBB6_19
; %bb.20:
	s_mov_b32 exec_lo, s1
	flat_load_b96 v[8:10], v[86:87] offset:716
	v_add_nc_u32_e32 v1, 1, v12
	s_mov_b32 s1, exec_lo
	s_wait_loadcnt_dscnt 0x0
	v_add_nc_u32_e32 v0, 1, v10
	s_clause 0x2
	flat_store_b128 v[86:87], v[4:7]
	flat_store_b32 v[86:87], v0 offset:724
	flat_store_b32 v[86:87], v1 offset:708
	flat_load_b32 v0, v[96:97] offset:8
	s_wait_loadcnt_dscnt 0x0
	v_add_nc_u32_e32 v11, v0, v11
	s_clause 0x1
	flat_store_b32 v[86:87], v11 offset:704
	flat_store_b8 v[86:87], v13 offset:304
	flat_load_b128 v[0:3], v[84:85]
	s_wait_loadcnt_dscnt 0x0
	v_mov_b32_e32 v3, 0x31004000
	v_and_b32_e32 v1, 0xffff, v1
.LBB6_21:                               ; =>This Inner Loop Header: Depth=1
	v_readfirstlane_b32 s4, v0
	s_delay_alu instid0(VALU_DEP_2) | instskip(SKIP_3) | instid1(VALU_DEP_3)
	v_readfirstlane_b32 s5, v1
	v_readfirstlane_b32 s6, v2
	v_readfirstlane_b32 s7, v3
	s_wait_alu 0xf1ff
	v_cmp_eq_u64_e32 vcc_lo, s[4:5], v[0:1]
	s_delay_alu instid0(VALU_DEP_2)
	v_cmp_eq_u64_e64 s0, s[6:7], v[2:3]
	s_and_b32 s0, vcc_lo, s0
	s_wait_alu 0xfffe
	s_and_saveexec_b32 s0, s0
	s_wait_loadcnt 0x0
	buffer_load_b128 v[4:7], v11, s[4:7], null offen
                                        ; implicit-def: $vgpr0_vgpr1_vgpr2_vgpr3
	s_xor_b32 exec_lo, exec_lo, s0
	s_cbranch_execnz .LBB6_21
; %bb.22:
	s_mov_b32 exec_lo, s1
	v_add_nc_u32_e32 v0, 2, v10
	v_add_nc_u32_e32 v1, 2, v12
	s_mov_b32 s1, exec_lo
	s_wait_loadcnt 0x0
	s_clause 0x2
	flat_store_b128 v[86:87], v[4:7] offset:16
	flat_store_b32 v[86:87], v0 offset:724
	flat_store_b32 v[86:87], v1 offset:708
	flat_load_b32 v0, v[96:97] offset:8
	s_wait_loadcnt_dscnt 0x0
	v_add_nc_u32_e32 v11, v0, v11
	s_clause 0x1
	flat_store_b32 v[86:87], v11 offset:704
	flat_store_b8 v[86:87], v13 offset:320
	flat_load_b128 v[0:3], v[84:85]
	s_wait_loadcnt_dscnt 0x0
	v_mov_b32_e32 v3, 0x31004000
	v_and_b32_e32 v1, 0xffff, v1
.LBB6_23:                               ; =>This Inner Loop Header: Depth=1
	v_readfirstlane_b32 s4, v0
	s_delay_alu instid0(VALU_DEP_2) | instskip(SKIP_3) | instid1(VALU_DEP_3)
	v_readfirstlane_b32 s5, v1
	v_readfirstlane_b32 s6, v2
	v_readfirstlane_b32 s7, v3
	s_wait_alu 0xf1ff
	v_cmp_eq_u64_e32 vcc_lo, s[4:5], v[0:1]
	s_delay_alu instid0(VALU_DEP_2)
	v_cmp_eq_u64_e64 s0, s[6:7], v[2:3]
	s_and_b32 s0, vcc_lo, s0
	s_wait_alu 0xfffe
	s_and_saveexec_b32 s0, s0
	s_wait_loadcnt 0x0
	buffer_load_b128 v[4:7], v11, s[4:7], null offen
                                        ; implicit-def: $vgpr0_vgpr1_vgpr2_vgpr3
	s_xor_b32 exec_lo, exec_lo, s0
	s_cbranch_execnz .LBB6_23
; %bb.24:
	s_mov_b32 exec_lo, s1
	v_add_nc_u32_e32 v0, 3, v10
	v_add_nc_u32_e32 v1, 3, v12
	s_mov_b32 s1, exec_lo
	s_wait_loadcnt 0x0
	s_clause 0x2
	flat_store_b128 v[86:87], v[4:7] offset:32
	;; [unrolled: 38-line block ×6, first 2 shown]
	flat_store_b32 v[86:87], v0 offset:724
	flat_store_b32 v[86:87], v1 offset:708
	flat_load_b32 v0, v[96:97] offset:8
	s_wait_loadcnt_dscnt 0x0
	v_add_nc_u32_e32 v11, v0, v11
	flat_store_b32 v[86:87], v11 offset:704
	flat_load_b128 v[0:3], v[84:85]
	s_wait_loadcnt_dscnt 0x0
	v_mov_b32_e32 v3, 0x31004000
	flat_store_b8 v[86:87], v13 offset:400
	v_and_b32_e32 v1, 0xffff, v1
.LBB6_33:                               ; =>This Inner Loop Header: Depth=1
	v_readfirstlane_b32 s4, v0
	s_delay_alu instid0(VALU_DEP_2) | instskip(SKIP_3) | instid1(VALU_DEP_3)
	v_readfirstlane_b32 s5, v1
	v_readfirstlane_b32 s6, v2
	;; [unrolled: 1-line block ×3, first 2 shown]
	s_wait_alu 0xf1ff
	v_cmp_eq_u64_e32 vcc_lo, s[4:5], v[0:1]
	s_delay_alu instid0(VALU_DEP_2)
	v_cmp_eq_u64_e64 s0, s[6:7], v[2:3]
	s_and_b32 s0, vcc_lo, s0
	s_wait_alu 0xfffe
	s_and_saveexec_b32 s0, s0
	s_wait_loadcnt 0x0
	buffer_load_b128 v[4:7], v11, s[4:7], null offen
                                        ; implicit-def: $vgpr0_vgpr1_vgpr2_vgpr3
	s_xor_b32 exec_lo, exec_lo, s0
	s_cbranch_execnz .LBB6_33
; %bb.34:
	s_mov_b32 exec_lo, s1
	s_wait_loadcnt 0x0
	flat_store_b128 v[86:87], v[4:7] offset:112
	flat_load_b96 v[0:2], v[82:83]
	s_mov_b32 s0, exec_lo
	s_wait_loadcnt_dscnt 0x0
	v_add_nc_u32_e32 v3, -7, v1
	v_add_nc_u32_e32 v4, v8, v0
	v_add_nc_u32_e32 v6, v1, v10
	v_add_nc_u32_e32 v5, v9, v2
	flat_store_b96 v[86:87], v[4:6] offset:716
	v_cmpx_ne_u32_e32 0, v3
	s_cbranch_execz .LBB6_36
; %bb.35:
	v_add_nc_u32_e32 v1, v12, v1
	flat_store_b32 v[86:87], v1 offset:708
.LBB6_36:
	s_wait_alu 0xfffe
	s_or_b32 exec_lo, exec_lo, s0
	v_or_b32_e32 v4, v2, v0
	v_mov_b32_e32 v1, 0
	s_mov_b32 s0, exec_lo
	s_delay_alu instid0(VALU_DEP_2)
	v_cmpx_ne_u32_e32 0, v4
	s_cbranch_execz .LBB6_38
; %bb.37:
	flat_load_b32 v5, v[96:97] offset:24
	flat_load_b32 v6, v[86:87] offset:712
	v_mov_b32_e32 v1, v2
	s_wait_loadcnt_dscnt 0x101
	s_delay_alu instid0(VALU_DEP_1) | instskip(SKIP_1) | instid1(VALU_DEP_1)
	v_mad_co_u64_u32 v[1:2], null, v5, v0, v[1:2]
	s_wait_loadcnt_dscnt 0x0
	v_add_nc_u32_e32 v0, v1, v6
	flat_store_b32 v[86:87], v0 offset:712
.LBB6_38:
	s_wait_alu 0xfffe
	s_or_b32 exec_lo, exec_lo, s0
	v_or_b32_e32 v0, v4, v3
	s_mov_b32 s0, exec_lo
	s_delay_alu instid0(VALU_DEP_1)
	v_cmpx_ne_u32_e32 0, v0
	s_cbranch_execz .LBB6_40
; %bb.39:
	flat_load_b32 v0, v[96:97] offset:8
	s_wait_loadcnt_dscnt 0x0
	v_mul_lo_u32 v0, v0, v3
	s_delay_alu instid0(VALU_DEP_1)
	v_add3_u32 v0, v11, v1, v0
	flat_store_b32 v[86:87], v0 offset:704
.LBB6_40:
	s_wait_alu 0xfffe
	s_or_b32 exec_lo, exec_lo, s0
	; sched_barrier mask(0x00000000)
	s_clause 0x10
	flat_load_u8 v20, v[86:87] offset:336
	flat_load_u8 v21, v[86:87] offset:352
	;; [unrolled: 1-line block ×5, first 2 shown]
	flat_load_b128 v[0:3], v[86:87] offset:48
	flat_load_b128 v[4:7], v[86:87] offset:64
	;; [unrolled: 1-line block ×5, first 2 shown]
	flat_load_u8 v38, v[86:87] offset:288
	flat_load_u8 v39, v[86:87] offset:304
	;; [unrolled: 1-line block ×3, first 2 shown]
	flat_load_b128 v[23:26], v[86:87] offset:32
	flat_load_b128 v[27:30], v[86:87]
	flat_load_b128 v[31:34], v[86:87] offset:16
	flat_load_b32 v49, v[86:87] offset:728
	s_wait_loadcnt_dscnt 0x1010
	v_and_b32_e32 v20, 1, v20
	s_delay_alu instid0(VALU_DEP_1)
	v_cmp_eq_u32_e32 vcc_lo, 1, v20
	s_wait_loadcnt_dscnt 0xf0f
	v_and_b32_e32 v21, 1, v21
	s_wait_loadcnt_dscnt 0xe0e
	v_and_b32_e32 v35, 1, v35
	s_wait_loadcnt_dscnt 0xb0b
	s_wait_alu 0xfffd
	v_dual_cndmask_b32 v1, 0, v1 :: v_dual_and_b32 v36, 1, v36
	s_wait_loadcnt_dscnt 0x404
	v_dual_cndmask_b32 v3, 0, v3 :: v_dual_and_b32 v20, 1, v48
	v_cndmask_b32_e32 v2, 0, v2, vcc_lo
	v_cndmask_b32_e32 v0, 0, v0, vcc_lo
	v_cmp_eq_u32_e64 s1, 1, v35
	v_cmp_eq_u32_e64 s2, 1, v36
	v_cmp_eq_u32_e32 vcc_lo, 1, v20
	v_and_b32_e32 v37, 1, v37
	v_cmp_eq_u32_e64 s0, 1, v21
	s_wait_alu 0xf1ff
	v_cndmask_b32_e64 v11, 0, v11, s1
	v_cndmask_b32_e64 v15, 0, v15, s2
	s_wait_loadcnt_dscnt 0x303
	s_wait_alu 0xfffd
	v_cndmask_b32_e32 v26, 0, v26, vcc_lo
	v_cmp_eq_u32_e64 s3, 1, v37
	v_cndmask_b32_e64 v10, 0, v10, s1
	v_cndmask_b32_e64 v9, 0, v9, s1
	;; [unrolled: 1-line block ×4, first 2 shown]
	s_wait_alu 0xf1ff
	v_cndmask_b32_e64 v19, 0, v19, s3
	v_cndmask_b32_e64 v13, 0, v13, s2
	;; [unrolled: 1-line block ×10, first 2 shown]
	s_clause 0x4
	flat_store_b128 v[86:87], v[0:3] offset:48
	flat_store_b128 v[86:87], v[4:7] offset:64
	;; [unrolled: 1-line block ×5, first 2 shown]
	s_clause 0x4
	flat_load_b128 v[3:6], v[86:87] offset:60
	flat_load_b128 v[7:10], v[86:87] offset:76
	;; [unrolled: 1-line block ×4, first 2 shown]
	flat_load_b32 v19, v[86:87] offset:124
	v_dual_cndmask_b32 v24, 0, v24 :: v_dual_and_b32 v21, 1, v39
	v_dual_cndmask_b32 v23, 0, v23 :: v_dual_and_b32 v20, 1, v38
	v_cndmask_b32_e32 v25, 0, v25, vcc_lo
	s_delay_alu instid0(VALU_DEP_3)
	v_cmp_eq_u32_e64 s0, 1, v21
	s_mov_b32 s1, exec_lo
	v_cmp_eq_u32_e32 vcc_lo, 1, v20
	s_wait_loadcnt_dscnt 0x60b
	s_wait_alu 0xf1ff
	v_cndmask_b32_e64 v34, 0, v34, s0
	v_cndmask_b32_e64 v33, 0, v33, s0
	;; [unrolled: 1-line block ×4, first 2 shown]
	s_wait_alu 0xfffd
	v_dual_cndmask_b32 v30, 0, v30 :: v_dual_cndmask_b32 v29, 0, v29
	v_dual_cndmask_b32 v28, 0, v28 :: v_dual_cndmask_b32 v27, 0, v27
	flat_store_b128 v[86:87], v[31:34] offset:16
	v_perm_b32 v31, v31, v31, 0x3020104
	s_clause 0x4
	flat_store_b128 v[86:87], v[23:26] offset:32
	flat_store_b128 v[86:87], v[27:30]
	flat_store_b128 v[86:87], v[27:30] offset:560
	flat_store_b128 v[86:87], v[31:34] offset:576
	;; [unrolled: 1-line block ×3, first 2 shown]
	s_wait_loadcnt_dscnt 0x40a
	flat_store_b128 v[86:87], v[0:3] offset:608
	s_wait_loadcnt_dscnt 0x30a
	flat_store_b128 v[86:87], v[4:7] offset:624
	;; [unrolled: 2-line block ×5, first 2 shown]
	flat_load_b64 v[0:1], v[54:55]
	v_ashrrev_i32_e32 v2, 31, v49
	s_wait_loadcnt_dscnt 0x0
	v_add_co_u32 v0, vcc_lo, v0, v49
	s_wait_alu 0xfffd
	s_delay_alu instid0(VALU_DEP_2)
	v_add_co_ci_u32_e64 v1, null, v1, v2, vcc_lo
	flat_store_b128 v[0:1], v[27:30]
	s_clause 0x4
	flat_load_b32 v7, v[86:87] offset:776
	flat_load_b32 v8, v[86:87] offset:764
	;; [unrolled: 1-line block ×3, first 2 shown]
	flat_load_b128 v[0:3], v[86:87] offset:748
	flat_load_b96 v[4:6], v[86:87] offset:728
	s_wait_loadcnt_dscnt 0x404
	v_add_nc_u32_e32 v10, 1, v7
	s_wait_loadcnt_dscnt 0x101
	v_sub_nc_u32_e32 v12, v0, v3
	s_delay_alu instid0(VALU_DEP_2) | instskip(NEXT) | instid1(VALU_DEP_1)
	v_sub_nc_u32_e32 v1, v10, v8
	v_add_nc_u32_e32 v11, v9, v1
	v_mov_b32_e32 v9, 0
	s_delay_alu instid0(VALU_DEP_2) | instskip(SKIP_3) | instid1(VALU_DEP_3)
	v_ashrrev_i32_e32 v1, 31, v11
	v_mov_b32_e32 v8, v11
	s_wait_loadcnt_dscnt 0x0
	v_sub_nc_u32_e32 v6, v11, v6
	v_lshrrev_b32_e32 v1, 29, v1
	s_delay_alu instid0(VALU_DEP_2) | instskip(NEXT) | instid1(VALU_DEP_2)
	v_lshlrev_b32_e32 v6, 7, v6
	v_add_nc_u32_e32 v1, v11, v1
	s_delay_alu instid0(VALU_DEP_1) | instskip(NEXT) | instid1(VALU_DEP_1)
	v_and_b32_e32 v1, -8, v1
	v_sub_nc_u32_e32 v0, v11, v1
	s_delay_alu instid0(VALU_DEP_1) | instskip(SKIP_2) | instid1(VALU_DEP_1)
	v_xor_b32_e32 v7, v12, v0
	flat_load_b128 v[0:3], v[86:87] offset:576
	v_sub_nc_u32_e32 v5, v7, v5
	v_lshlrev_b32_e32 v5, 4, v5
	s_delay_alu instid0(VALU_DEP_1)
	v_add3_u32 v6, v6, v5, v4
	s_clause 0x3
	flat_store_b32 v[86:87], v10 offset:776
	flat_store_b64 v[86:87], v[9:10] offset:760
	flat_store_b64 v[86:87], v[11:12] offset:744
	flat_store_b96 v[86:87], v[6:8] offset:728
	flat_load_b64 v[4:5], v[54:55]
	v_ashrrev_i32_e32 v7, 31, v6
	s_wait_loadcnt_dscnt 0x0
	v_add_co_u32 v4, vcc_lo, v4, v6
	s_wait_alu 0xfffd
	s_delay_alu instid0(VALU_DEP_2)
	v_add_co_ci_u32_e64 v5, null, v5, v7, vcc_lo
	flat_store_b128 v[4:5], v[0:3]
	s_clause 0x4
	flat_load_b32 v7, v[86:87] offset:776
	flat_load_b32 v8, v[86:87] offset:764
	flat_load_b32 v11, v[86:87] offset:744
	flat_load_b128 v[0:3], v[86:87] offset:748
	flat_load_b96 v[4:6], v[86:87] offset:728
	s_wait_loadcnt_dscnt 0x404
	v_add_nc_u32_e32 v10, 1, v7
	s_wait_loadcnt_dscnt 0x101
	v_sub_nc_u32_e32 v12, v0, v3
	s_delay_alu instid0(VALU_DEP_2) | instskip(NEXT) | instid1(VALU_DEP_1)
	v_sub_nc_u32_e32 v1, v10, v8
	v_add_nc_u32_e32 v11, v11, v1
	s_delay_alu instid0(VALU_DEP_1) | instskip(SKIP_3) | instid1(VALU_DEP_3)
	v_ashrrev_i32_e32 v1, 31, v11
	s_wait_loadcnt_dscnt 0x0
	v_sub_nc_u32_e32 v6, v11, v6
	v_mov_b32_e32 v8, v11
	v_lshrrev_b32_e32 v1, 29, v1
	s_delay_alu instid0(VALU_DEP_3) | instskip(NEXT) | instid1(VALU_DEP_2)
	v_lshlrev_b32_e32 v6, 7, v6
	v_add_nc_u32_e32 v1, v11, v1
	s_delay_alu instid0(VALU_DEP_1) | instskip(NEXT) | instid1(VALU_DEP_1)
	v_and_b32_e32 v1, -8, v1
	v_sub_nc_u32_e32 v0, v11, v1
	s_delay_alu instid0(VALU_DEP_1) | instskip(SKIP_2) | instid1(VALU_DEP_1)
	v_xor_b32_e32 v7, v12, v0
	flat_load_b128 v[0:3], v[86:87] offset:592
	v_sub_nc_u32_e32 v5, v7, v5
	v_lshlrev_b32_e32 v5, 4, v5
	s_delay_alu instid0(VALU_DEP_1)
	v_add3_u32 v6, v6, v5, v4
	s_clause 0x3
	flat_store_b32 v[86:87], v10 offset:776
	flat_store_b64 v[86:87], v[9:10] offset:760
	flat_store_b64 v[86:87], v[11:12] offset:744
	flat_store_b96 v[86:87], v[6:8] offset:728
	flat_load_b64 v[4:5], v[54:55]
	v_ashrrev_i32_e32 v7, 31, v6
	s_wait_loadcnt_dscnt 0x0
	v_add_co_u32 v4, vcc_lo, v4, v6
	s_wait_alu 0xfffd
	s_delay_alu instid0(VALU_DEP_2)
	v_add_co_ci_u32_e64 v5, null, v5, v7, vcc_lo
	flat_store_b128 v[4:5], v[0:3]
	s_clause 0x4
	flat_load_b32 v7, v[86:87] offset:776
	flat_load_b32 v8, v[86:87] offset:764
	flat_load_b32 v11, v[86:87] offset:744
	flat_load_b128 v[0:3], v[86:87] offset:748
	flat_load_b96 v[4:6], v[86:87] offset:728
	s_wait_loadcnt_dscnt 0x404
	v_add_nc_u32_e32 v10, 1, v7
	s_wait_loadcnt_dscnt 0x101
	v_sub_nc_u32_e32 v12, v0, v3
	s_delay_alu instid0(VALU_DEP_2) | instskip(NEXT) | instid1(VALU_DEP_1)
	v_sub_nc_u32_e32 v1, v10, v8
	v_add_nc_u32_e32 v11, v11, v1
	s_delay_alu instid0(VALU_DEP_1) | instskip(SKIP_3) | instid1(VALU_DEP_3)
	v_ashrrev_i32_e32 v1, 31, v11
	s_wait_loadcnt_dscnt 0x0
	v_sub_nc_u32_e32 v6, v11, v6
	v_mov_b32_e32 v8, v11
	v_lshrrev_b32_e32 v1, 29, v1
	s_delay_alu instid0(VALU_DEP_3) | instskip(NEXT) | instid1(VALU_DEP_2)
	;; [unrolled: 45-line block ×6, first 2 shown]
	v_lshlrev_b32_e32 v6, 7, v6
	v_add_nc_u32_e32 v1, v11, v1
	s_delay_alu instid0(VALU_DEP_1) | instskip(NEXT) | instid1(VALU_DEP_1)
	v_and_b32_e32 v1, -8, v1
	v_sub_nc_u32_e32 v0, v11, v1
	s_delay_alu instid0(VALU_DEP_1) | instskip(SKIP_2) | instid1(VALU_DEP_1)
	v_xor_b32_e32 v7, v12, v0
	flat_load_b128 v[0:3], v[86:87] offset:672
	v_sub_nc_u32_e32 v5, v7, v5
	v_lshlrev_b32_e32 v5, 4, v5
	s_delay_alu instid0(VALU_DEP_1)
	v_add3_u32 v6, v6, v5, v4
	s_clause 0x3
	flat_store_b32 v[86:87], v10 offset:776
	flat_store_b64 v[86:87], v[9:10] offset:760
	flat_store_b64 v[86:87], v[11:12] offset:744
	flat_store_b96 v[86:87], v[6:8] offset:728
	flat_load_b64 v[4:5], v[54:55]
	v_ashrrev_i32_e32 v7, 31, v6
	s_wait_loadcnt_dscnt 0x0
	v_add_co_u32 v4, vcc_lo, v4, v6
	s_wait_alu 0xfffd
	s_delay_alu instid0(VALU_DEP_2)
	v_add_co_ci_u32_e64 v5, null, v5, v7, vcc_lo
	flat_store_b128 v[4:5], v[0:3]
	s_clause 0x4
	flat_load_b32 v8, v[86:87] offset:776
	flat_load_b64 v[4:5], v[86:87] offset:760
	flat_load_b64 v[6:7], v[86:87] offset:744
	;; [unrolled: 1-line block ×3, first 2 shown]
	flat_load_b128 v[0:3], v[86:87] offset:716
	s_wait_loadcnt_dscnt 0x404
	v_add_nc_u32_e32 v10, -7, v8
	s_wait_loadcnt_dscnt 0x202
	v_sub_nc_u32_e32 v7, v7, v4
	s_delay_alu instid0(VALU_DEP_2) | instskip(NEXT) | instid1(VALU_DEP_1)
	v_sub_nc_u32_e32 v5, v10, v5
	v_add_nc_u32_e32 v6, v6, v5
	s_delay_alu instid0(VALU_DEP_1) | instskip(NEXT) | instid1(VALU_DEP_1)
	v_ashrrev_i32_e32 v5, 31, v6
	v_lshrrev_b32_e32 v5, 29, v5
	s_delay_alu instid0(VALU_DEP_1) | instskip(NEXT) | instid1(VALU_DEP_1)
	v_add_nc_u32_e32 v5, v6, v5
	v_and_b32_e32 v5, -8, v5
	s_delay_alu instid0(VALU_DEP_1) | instskip(SKIP_2) | instid1(VALU_DEP_2)
	v_sub_nc_u32_e32 v4, v6, v5
	s_wait_loadcnt_dscnt 0x101
	v_sub_nc_u32_e32 v5, v6, v12
	v_xor_b32_e32 v4, v7, v4
	s_delay_alu instid0(VALU_DEP_2) | instskip(SKIP_1) | instid1(VALU_DEP_3)
	v_lshlrev_b32_e32 v13, 7, v5
	v_mov_b32_e32 v5, v6
	v_sub_nc_u32_e32 v8, v4, v11
	flat_load_b64 v[11:12], v[86:87] offset:704
	v_lshlrev_b32_e32 v8, 4, v8
	s_wait_loadcnt_dscnt 0x101
	s_delay_alu instid0(VALU_DEP_1)
	v_add3_u32 v3, v13, v8, v3
	v_mov_b32_e32 v13, 1
	s_clause 0x4
	flat_store_b32 v[86:87], v10 offset:776
	flat_store_b64 v[86:87], v[9:10] offset:760
	flat_store_b64 v[86:87], v[6:7] offset:744
	flat_store_b96 v[86:87], v[3:5] offset:728
	flat_store_b8 v[86:87], v13 offset:288
	flat_load_b128 v[3:6], v[84:85]
	s_wait_loadcnt_dscnt 0x0
	v_mov_b32_e32 v6, 0x31004000
	v_and_b32_e32 v4, 0xffff, v4
.LBB6_41:                               ; =>This Inner Loop Header: Depth=1
	v_readfirstlane_b32 s4, v3
	s_delay_alu instid0(VALU_DEP_2) | instskip(SKIP_3) | instid1(VALU_DEP_3)
	v_readfirstlane_b32 s5, v4
	v_readfirstlane_b32 s6, v5
	;; [unrolled: 1-line block ×3, first 2 shown]
	s_wait_alu 0xf1ff
	v_cmp_eq_u64_e32 vcc_lo, s[4:5], v[3:4]
	s_delay_alu instid0(VALU_DEP_2)
	v_cmp_eq_u64_e64 s0, s[6:7], v[5:6]
	s_and_b32 s0, vcc_lo, s0
	s_wait_alu 0xfffe
	s_and_saveexec_b32 s0, s0
	s_wait_loadcnt 0x0
	buffer_load_b128 v[7:10], v11, s[4:7], null offen
                                        ; implicit-def: $vgpr3_vgpr4_vgpr5_vgpr6
	s_xor_b32 exec_lo, exec_lo, s0
	s_cbranch_execnz .LBB6_41
; %bb.42:
	s_mov_b32 exec_lo, s1
	v_add_nc_u32_e32 v3, 1, v2
	v_add_nc_u32_e32 v4, 1, v12
	s_mov_b32 s1, exec_lo
	s_wait_loadcnt 0x0
	s_clause 0x2
	flat_store_b128 v[86:87], v[7:10]
	flat_store_b32 v[86:87], v3 offset:724
	flat_store_b32 v[86:87], v4 offset:708
	flat_load_b32 v3, v[96:97] offset:8
	s_wait_loadcnt_dscnt 0x0
	v_add_nc_u32_e32 v11, v3, v11
	s_clause 0x1
	flat_store_b32 v[86:87], v11 offset:704
	flat_store_b8 v[86:87], v13 offset:304
	flat_load_b128 v[3:6], v[84:85]
	s_wait_loadcnt_dscnt 0x0
	v_mov_b32_e32 v6, 0x31004000
	v_and_b32_e32 v4, 0xffff, v4
.LBB6_43:                               ; =>This Inner Loop Header: Depth=1
	v_readfirstlane_b32 s4, v3
	s_delay_alu instid0(VALU_DEP_2) | instskip(SKIP_3) | instid1(VALU_DEP_3)
	v_readfirstlane_b32 s5, v4
	v_readfirstlane_b32 s6, v5
	v_readfirstlane_b32 s7, v6
	s_wait_alu 0xf1ff
	v_cmp_eq_u64_e32 vcc_lo, s[4:5], v[3:4]
	s_delay_alu instid0(VALU_DEP_2)
	v_cmp_eq_u64_e64 s0, s[6:7], v[5:6]
	s_and_b32 s0, vcc_lo, s0
	s_wait_alu 0xfffe
	s_and_saveexec_b32 s0, s0
	s_wait_loadcnt 0x0
	buffer_load_b128 v[7:10], v11, s[4:7], null offen
                                        ; implicit-def: $vgpr3_vgpr4_vgpr5_vgpr6
	s_xor_b32 exec_lo, exec_lo, s0
	s_cbranch_execnz .LBB6_43
; %bb.44:
	s_mov_b32 exec_lo, s1
	v_add_nc_u32_e32 v3, 2, v2
	v_add_nc_u32_e32 v4, 2, v12
	s_mov_b32 s1, exec_lo
	s_wait_loadcnt 0x0
	s_clause 0x2
	flat_store_b128 v[86:87], v[7:10] offset:16
	flat_store_b32 v[86:87], v3 offset:724
	flat_store_b32 v[86:87], v4 offset:708
	flat_load_b32 v3, v[96:97] offset:8
	s_wait_loadcnt_dscnt 0x0
	v_add_nc_u32_e32 v11, v3, v11
	s_clause 0x1
	flat_store_b32 v[86:87], v11 offset:704
	flat_store_b8 v[86:87], v13 offset:320
	flat_load_b128 v[3:6], v[84:85]
	s_wait_loadcnt_dscnt 0x0
	v_mov_b32_e32 v6, 0x31004000
	v_and_b32_e32 v4, 0xffff, v4
.LBB6_45:                               ; =>This Inner Loop Header: Depth=1
	v_readfirstlane_b32 s4, v3
	s_delay_alu instid0(VALU_DEP_2) | instskip(SKIP_3) | instid1(VALU_DEP_3)
	v_readfirstlane_b32 s5, v4
	v_readfirstlane_b32 s6, v5
	v_readfirstlane_b32 s7, v6
	s_wait_alu 0xf1ff
	v_cmp_eq_u64_e32 vcc_lo, s[4:5], v[3:4]
	s_delay_alu instid0(VALU_DEP_2)
	v_cmp_eq_u64_e64 s0, s[6:7], v[5:6]
	s_and_b32 s0, vcc_lo, s0
	s_wait_alu 0xfffe
	s_and_saveexec_b32 s0, s0
	s_wait_loadcnt 0x0
	buffer_load_b128 v[7:10], v11, s[4:7], null offen
                                        ; implicit-def: $vgpr3_vgpr4_vgpr5_vgpr6
	s_xor_b32 exec_lo, exec_lo, s0
	s_cbranch_execnz .LBB6_45
; %bb.46:
	s_mov_b32 exec_lo, s1
	v_add_nc_u32_e32 v3, 3, v2
	v_add_nc_u32_e32 v4, 3, v12
	s_mov_b32 s1, exec_lo
	s_wait_loadcnt 0x0
	s_clause 0x2
	flat_store_b128 v[86:87], v[7:10] offset:32
	;; [unrolled: 38-line block ×6, first 2 shown]
	flat_store_b32 v[86:87], v3 offset:724
	flat_store_b32 v[86:87], v4 offset:708
	flat_load_b32 v3, v[96:97] offset:8
	s_wait_loadcnt_dscnt 0x0
	v_add_nc_u32_e32 v11, v3, v11
	flat_store_b32 v[86:87], v11 offset:704
	flat_load_b128 v[3:6], v[84:85]
	s_wait_loadcnt_dscnt 0x0
	v_mov_b32_e32 v6, 0x31004000
	flat_store_b8 v[86:87], v13 offset:400
	v_and_b32_e32 v4, 0xffff, v4
.LBB6_55:                               ; =>This Inner Loop Header: Depth=1
	v_readfirstlane_b32 s4, v3
	s_delay_alu instid0(VALU_DEP_2) | instskip(SKIP_3) | instid1(VALU_DEP_3)
	v_readfirstlane_b32 s5, v4
	v_readfirstlane_b32 s6, v5
	;; [unrolled: 1-line block ×3, first 2 shown]
	s_wait_alu 0xf1ff
	v_cmp_eq_u64_e32 vcc_lo, s[4:5], v[3:4]
	s_delay_alu instid0(VALU_DEP_2)
	v_cmp_eq_u64_e64 s0, s[6:7], v[5:6]
	s_and_b32 s0, vcc_lo, s0
	s_wait_alu 0xfffe
	s_and_saveexec_b32 s0, s0
	s_wait_loadcnt 0x0
	buffer_load_b128 v[7:10], v11, s[4:7], null offen
                                        ; implicit-def: $vgpr3_vgpr4_vgpr5_vgpr6
	s_xor_b32 exec_lo, exec_lo, s0
	s_cbranch_execnz .LBB6_55
; %bb.56:
	s_mov_b32 exec_lo, s1
	s_wait_loadcnt 0x0
	flat_store_b128 v[86:87], v[7:10] offset:112
	flat_load_b96 v[3:5], v[82:83]
	s_mov_b32 s0, exec_lo
	s_wait_loadcnt_dscnt 0x0
	v_add_nc_u32_e32 v6, -7, v4
	v_add_nc_u32_e32 v0, v0, v3
	v_add_nc_u32_e32 v2, v4, v2
	;; [unrolled: 1-line block ×3, first 2 shown]
	flat_store_b96 v[86:87], v[0:2] offset:716
	v_cmpx_ne_u32_e32 0, v6
	s_cbranch_execz .LBB6_58
; %bb.57:
	v_add_nc_u32_e32 v0, v12, v4
	flat_store_b32 v[86:87], v0 offset:708
.LBB6_58:
	s_wait_alu 0xfffe
	s_or_b32 exec_lo, exec_lo, s0
	v_or_b32_e32 v2, v5, v3
	v_mov_b32_e32 v0, 0
	s_mov_b32 s0, exec_lo
	s_delay_alu instid0(VALU_DEP_2)
	v_cmpx_ne_u32_e32 0, v2
	s_cbranch_execz .LBB6_60
; %bb.59:
	flat_load_b32 v1, v[96:97] offset:24
	flat_load_b32 v4, v[86:87] offset:712
	v_mov_b32_e32 v0, v5
	s_wait_loadcnt_dscnt 0x101
	s_delay_alu instid0(VALU_DEP_1) | instskip(SKIP_1) | instid1(VALU_DEP_1)
	v_mad_co_u64_u32 v[0:1], null, v1, v3, v[0:1]
	s_wait_loadcnt_dscnt 0x0
	v_add_nc_u32_e32 v1, v0, v4
	flat_store_b32 v[86:87], v1 offset:712
.LBB6_60:
	s_wait_alu 0xfffe
	s_or_b32 exec_lo, exec_lo, s0
	v_or_b32_e32 v1, v2, v6
	s_mov_b32 s4, 0
	s_mov_b32 s0, exec_lo
	s_delay_alu instid0(VALU_DEP_1)
	v_cmpx_ne_u32_e32 0, v1
	s_cbranch_execz .LBB6_62
; %bb.61:
	flat_load_b32 v1, v[96:97] offset:8
	s_wait_loadcnt_dscnt 0x0
	v_mul_lo_u32 v1, v1, v6
	s_delay_alu instid0(VALU_DEP_1)
	v_add3_u32 v0, v11, v0, v1
	flat_store_b32 v[86:87], v0 offset:704
.LBB6_62:
	s_wait_alu 0xfffe
	s_or_b32 exec_lo, exec_lo, s0
	s_wait_dscnt 0x0
	s_barrier_signal -1
	s_barrier_wait -1
	s_clause 0x3
	flat_load_b96 v[4:6], v[64:65] offset:1132
	flat_load_b64 v[7:8], v[64:65] offset:1148
	flat_load_b64 v[9:10], v[64:65] offset:1184
	flat_load_b32 v13, v[64:65] offset:1176
	scratch_load_b128 v[0:3], off, s33
	flat_load_b64 v[11:12], v[54:55]
	s_mov_b32 s5, s4
	s_mov_b32 s6, s4
	;; [unrolled: 1-line block ×3, first 2 shown]
	s_mov_b64 s[0:1], src_private_base
	s_wait_loadcnt_dscnt 0x504
	v_ashrrev_i32_e32 v14, 31, v4
	s_wait_loadcnt_dscnt 0x403
	v_sub_nc_u32_e32 v6, v7, v6
	s_wait_loadcnt_dscnt 0x302
	v_add_nc_u32_e32 v15, 16, v10
	v_add_nc_u32_e32 v16, 64, v10
	;; [unrolled: 1-line block ×3, first 2 shown]
	s_wait_loadcnt_dscnt 0x201
	v_sub_nc_u32_e32 v8, v8, v13
	v_ashrrev_i32_e32 v13, 31, v7
	v_ashrrev_i32_e32 v49, 31, v15
	;; [unrolled: 1-line block ×4, first 2 shown]
	v_lshl_add_u32 v6, v6, 7, v4
	v_lshrrev_b32_e32 v13, 29, v13
	v_lshrrev_b32_e32 v49, 28, v49
	;; [unrolled: 1-line block ×4, first 2 shown]
	v_sub_nc_u32_e32 v6, v6, v9
	v_add_nc_u32_e32 v13, v7, v13
	v_add_nc_u32_e32 v49, v15, v49
	;; [unrolled: 1-line block ×4, first 2 shown]
	s_wait_loadcnt_dscnt 0x0
	v_add_co_u32 v4, vcc_lo, v11, v4
	v_and_b32_e32 v13, -8, v13
	v_lshrrev_b32_e32 v98, 4, v49
	v_lshrrev_b32_e32 v99, 4, v50
	v_lshrrev_b32_e32 v100, 4, v51
	v_and_b32_e32 v49, -16, v49
	v_sub_nc_u32_e32 v7, v7, v13
	v_add_nc_u32_e32 v9, v98, v8
	v_add_nc_u32_e32 v13, v99, v8
	;; [unrolled: 1-line block ×3, first 2 shown]
	v_and_b32_e32 v50, -16, v50
	v_sub_nc_u32_e32 v15, v15, v49
	v_xor_b32_e32 v9, v9, v7
	v_xor_b32_e32 v13, v13, v7
	;; [unrolled: 1-line block ×3, first 2 shown]
	v_and_b32_e32 v8, -16, v51
	v_ashrrev_i32_e32 v17, 16, v0
	v_sub_nc_u32_e32 v9, v9, v5
	v_sub_nc_u32_e32 v13, v13, v5
	;; [unrolled: 1-line block ×5, first 2 shown]
	v_lshlrev_b32_e32 v9, 4, v9
	v_lshlrev_b32_e32 v10, 4, v13
	;; [unrolled: 1-line block ×3, first 2 shown]
	v_ashrrev_i32_e32 v18, 8, v0
	v_ashrrev_i32_e32 v19, 24, v0
	v_add3_u32 v9, v15, v6, v9
	v_add3_u32 v10, v7, v6, v10
	;; [unrolled: 1-line block ×3, first 2 shown]
	s_wait_alu 0xfffd
	v_add_co_ci_u32_e64 v5, null, v12, v14, vcc_lo
	v_ashrrev_i32_e32 v7, 31, v9
	v_ashrrev_i32_e32 v14, 31, v10
	v_add_co_u32 v6, vcc_lo, v11, v9
	v_ashrrev_i32_e32 v49, 31, v15
	s_wait_alu 0xfffd
	v_add_co_ci_u32_e64 v7, null, v12, v7, vcc_lo
	v_add_co_u32 v8, vcc_lo, v11, v10
	s_wait_alu 0xfffd
	v_add_co_ci_u32_e64 v9, null, v12, v14, vcc_lo
	v_add_co_u32 v10, vcc_lo, v11, v15
	s_wait_alu 0xfffd
	v_add_co_ci_u32_e64 v11, null, v12, v49, vcc_lo
	v_ashrrev_i32_e32 v20, 4, v0
	v_ashrrev_i32_e32 v21, 20, v0
	v_ashrrev_i32_e32 v23, 12, v0
	v_ashrrev_i32_e32 v24, 28, v0
	v_ashrrev_i32_e32 v25, 16, v1
	v_ashrrev_i32_e32 v26, 8, v1
	v_ashrrev_i32_e32 v27, 24, v1
	v_ashrrev_i32_e32 v28, 4, v1
	v_ashrrev_i32_e32 v29, 20, v1
	v_ashrrev_i32_e32 v30, 12, v1
	v_ashrrev_i32_e32 v31, 28, v1
	v_ashrrev_i32_e32 v32, 16, v2
	v_ashrrev_i32_e32 v33, 8, v2
	v_ashrrev_i32_e32 v34, 24, v2
	v_ashrrev_i32_e32 v35, 4, v2
	v_ashrrev_i32_e32 v36, 20, v2
	v_ashrrev_i32_e32 v37, 12, v2
	v_ashrrev_i32_e32 v38, 28, v2
	v_ashrrev_i32_e32 v39, 16, v3
	v_ashrrev_i32_e32 v48, 8, v3
	v_ashrrev_i32_e32 v102, 24, v3
	v_ashrrev_i32_e32 v13, 20, v3
	v_ashrrev_i32_e32 v16, 12, v3
	v_ashrrev_i32_e32 v12, 28, v3
	v_ashrrev_i32_e32 v103, 4, v3
	s_clause 0x3
	flat_load_b128 v[116:119], v[4:5]
	flat_load_b128 v[128:131], v[6:7]
	;; [unrolled: 1-line block ×4, first 2 shown]
	;;#ASMSTART
	v_cvt_off_f32_i4 v14, v0
	;;#ASMEND
	;;#ASMSTART
	v_cvt_off_f32_i4 v15, v17
	;;#ASMEND
	;; [unrolled: 3-line block ×32, first 2 shown]
	scratch_load_b128 v[0:3], off, s33 offset:64
	v_dual_mov_b32 v4, 0 :: v_dual_mov_b32 v5, 0
	v_dual_mov_b32 v6, 0 :: v_dual_mov_b32 v7, 0
	;; [unrolled: 1-line block ×4, first 2 shown]
	s_delay_alu instid0(VALU_DEP_4)
	v_cvt_pk_fp8_f32 v4, v14, v15
	v_cvt_pk_fp8_f32 v5, v17, v18
	;; [unrolled: 1-line block ×8, first 2 shown]
	v_cvt_pk_fp8_f32 v4, v19, v20 op_sel:[0,0,1]
	v_cvt_pk_fp8_f32 v5, v21, v23 op_sel:[0,0,1]
	;; [unrolled: 1-line block ×8, first 2 shown]
	s_clause 0x1
	scratch_store_b128 off, v[4:7], s33 offset:512
	scratch_store_b128 off, v[8:11], s33 offset:528
	s_wait_loadcnt 0x0
	;;#ASMSTART
	v_cvt_off_f32_i4 v12, v0
	;;#ASMEND
	v_ashrrev_i32_e32 v4, 16, v0
	v_ashrrev_i32_e32 v5, 8, v0
	;; [unrolled: 1-line block ×28, first 2 shown]
	;;#ASMSTART
	v_cvt_off_f32_i4 v33, v4
	;;#ASMEND
	;;#ASMSTART
	v_cvt_off_f32_i4 v34, v5
	;;#ASMEND
	;; [unrolled: 3-line block ×31, first 2 shown]
	scratch_load_b128 v[0:3], off, s33 offset:128
	v_dual_mov_b32 v4, 0 :: v_dual_mov_b32 v5, 0
	v_dual_mov_b32 v6, 0 :: v_dual_mov_b32 v7, 0
	;; [unrolled: 1-line block ×4, first 2 shown]
	s_delay_alu instid0(VALU_DEP_4)
	v_cvt_pk_fp8_f32 v4, v12, v33
	v_cvt_pk_fp8_f32 v5, v34, v35
	;; [unrolled: 1-line block ×8, first 2 shown]
	v_cvt_pk_fp8_f32 v4, v36, v37 op_sel:[0,0,1]
	v_cvt_pk_fp8_f32 v5, v38, v39 op_sel:[0,0,1]
	;; [unrolled: 1-line block ×8, first 2 shown]
	s_clause 0x1
	scratch_store_b128 off, v[4:7], s33 offset:576
	scratch_store_b128 off, v[8:11], s33 offset:592
	s_wait_loadcnt 0x0
	;;#ASMSTART
	v_cvt_off_f32_i4 v12, v0
	;;#ASMEND
	v_ashrrev_i32_e32 v4, 16, v0
	v_ashrrev_i32_e32 v5, 8, v0
	;; [unrolled: 1-line block ×28, first 2 shown]
	;;#ASMSTART
	v_cvt_off_f32_i4 v33, v4
	;;#ASMEND
	;;#ASMSTART
	v_cvt_off_f32_i4 v34, v5
	;;#ASMEND
	;; [unrolled: 3-line block ×31, first 2 shown]
	scratch_load_b128 v[0:3], off, s33 offset:192
	v_dual_mov_b32 v4, 0 :: v_dual_mov_b32 v5, 0
	v_mov_b32_e32 v10, 0
	v_dual_mov_b32 v6, 0 :: v_dual_mov_b32 v7, 0
	v_dual_mov_b32 v8, 0 :: v_dual_mov_b32 v9, 0
	v_mov_b32_e32 v11, 0
	v_cvt_pk_fp8_f32 v4, v12, v33
	v_cvt_pk_fp8_f32 v5, v34, v35
	;; [unrolled: 1-line block ×8, first 2 shown]
	v_cvt_pk_fp8_f32 v4, v36, v37 op_sel:[0,0,1]
	v_cvt_pk_fp8_f32 v5, v38, v39 op_sel:[0,0,1]
	;; [unrolled: 1-line block ×8, first 2 shown]
	s_clause 0x1
	scratch_store_b128 off, v[4:7], s33 offset:640
	scratch_store_b128 off, v[8:11], s33 offset:656
	s_wait_loadcnt 0x0
	;;#ASMSTART
	v_cvt_off_f32_i4 v12, v0
	;;#ASMEND
	v_ashrrev_i32_e32 v4, 16, v0
	v_ashrrev_i32_e32 v5, 8, v0
	;; [unrolled: 1-line block ×28, first 2 shown]
	;;#ASMSTART
	v_cvt_off_f32_i4 v33, v4
	;;#ASMEND
	;;#ASMSTART
	v_cvt_off_f32_i4 v34, v5
	;;#ASMEND
	;; [unrolled: 3-line block ×31, first 2 shown]
	scratch_load_b128 v[0:3], off, s33 offset:224
	v_dual_mov_b32 v4, 0 :: v_dual_mov_b32 v5, 0
	v_mov_b32_e32 v10, 0
	v_dual_mov_b32 v6, 0 :: v_dual_mov_b32 v7, 0
	v_dual_mov_b32 v8, 0 :: v_dual_mov_b32 v9, 0
	v_mov_b32_e32 v11, 0
	v_cvt_pk_fp8_f32 v4, v12, v33
	v_cvt_pk_fp8_f32 v5, v34, v35
	;; [unrolled: 1-line block ×8, first 2 shown]
	v_cvt_pk_fp8_f32 v4, v36, v37 op_sel:[0,0,1]
	v_cvt_pk_fp8_f32 v5, v38, v39 op_sel:[0,0,1]
	v_cvt_pk_fp8_f32 v6, v14, v15 op_sel:[0,0,1]
	v_cvt_pk_fp8_f32 v7, v16, v17 op_sel:[0,0,1]
	v_cvt_pk_fp8_f32 v8, v21, v23 op_sel:[0,0,1]
	v_cvt_pk_fp8_f32 v9, v24, v25 op_sel:[0,0,1]
	v_cvt_pk_fp8_f32 v10, v29, v30 op_sel:[0,0,1]
	v_cvt_pk_fp8_f32 v11, v31, v32 op_sel:[0,0,1]
	s_clause 0x1
	scratch_store_b128 off, v[4:7], s33 offset:704
	scratch_store_b128 off, v[8:11], s33 offset:720
	s_wait_loadcnt 0x0
	;;#ASMSTART
	v_cvt_off_f32_i4 v12, v0
	;;#ASMEND
	v_ashrrev_i32_e32 v4, 16, v0
	v_ashrrev_i32_e32 v5, 8, v0
	;; [unrolled: 1-line block ×28, first 2 shown]
	;;#ASMSTART
	v_cvt_off_f32_i4 v33, v4
	;;#ASMEND
	;;#ASMSTART
	v_cvt_off_f32_i4 v34, v5
	;;#ASMEND
	;; [unrolled: 3-line block ×31, first 2 shown]
	scratch_load_b128 v[0:3], off, s33 offset:160
	v_dual_mov_b32 v4, 0 :: v_dual_mov_b32 v5, 0
	v_mov_b32_e32 v10, 0
	v_dual_mov_b32 v6, 0 :: v_dual_mov_b32 v7, 0
	v_dual_mov_b32 v8, 0 :: v_dual_mov_b32 v9, 0
	v_mov_b32_e32 v11, 0
	v_cvt_pk_fp8_f32 v4, v12, v33
	v_cvt_pk_fp8_f32 v5, v34, v35
	;; [unrolled: 1-line block ×8, first 2 shown]
	v_cvt_pk_fp8_f32 v4, v36, v37 op_sel:[0,0,1]
	v_cvt_pk_fp8_f32 v5, v38, v39 op_sel:[0,0,1]
	;; [unrolled: 1-line block ×8, first 2 shown]
	s_clause 0x1
	scratch_store_b128 off, v[4:7], s33 offset:736
	scratch_store_b128 off, v[8:11], s33 offset:752
	s_wait_loadcnt 0x0
	;;#ASMSTART
	v_cvt_off_f32_i4 v12, v0
	;;#ASMEND
	v_ashrrev_i32_e32 v4, 16, v0
	v_ashrrev_i32_e32 v5, 8, v0
	;; [unrolled: 1-line block ×28, first 2 shown]
	;;#ASMSTART
	v_cvt_off_f32_i4 v33, v4
	;;#ASMEND
	;;#ASMSTART
	v_cvt_off_f32_i4 v34, v5
	;;#ASMEND
	;; [unrolled: 3-line block ×31, first 2 shown]
	scratch_load_b128 v[0:3], off, s33 offset:96
	v_dual_mov_b32 v4, 0 :: v_dual_mov_b32 v5, 0
	v_mov_b32_e32 v10, 0
	v_dual_mov_b32 v6, 0 :: v_dual_mov_b32 v7, 0
	v_dual_mov_b32 v8, 0 :: v_dual_mov_b32 v9, 0
	v_mov_b32_e32 v11, 0
	v_cvt_pk_fp8_f32 v4, v12, v33
	v_cvt_pk_fp8_f32 v5, v34, v35
	;; [unrolled: 1-line block ×4, first 2 shown]
	v_mov_b32_e32 v102, 0
	v_cvt_pk_fp8_f32 v7, v50, v13
	v_cvt_pk_fp8_f32 v8, v51, v18
	;; [unrolled: 1-line block ×4, first 2 shown]
	v_cvt_pk_fp8_f32 v4, v36, v37 op_sel:[0,0,1]
	v_cvt_pk_fp8_f32 v5, v38, v39 op_sel:[0,0,1]
	;; [unrolled: 1-line block ×8, first 2 shown]
	s_clause 0x1
	scratch_store_b128 off, v[4:7], s33 offset:672
	scratch_store_b128 off, v[8:11], s33 offset:688
	s_wait_loadcnt 0x0
	;;#ASMSTART
	v_cvt_off_f32_i4 v19, v0
	;;#ASMEND
	v_ashrrev_i32_e32 v4, 16, v0
	v_ashrrev_i32_e32 v5, 8, v0
	v_ashrrev_i32_e32 v6, 24, v0
	v_ashrrev_i32_e32 v7, 4, v0
	v_ashrrev_i32_e32 v8, 20, v0
	v_ashrrev_i32_e32 v9, 12, v0
	v_ashrrev_i32_e32 v0, 28, v0
	v_ashrrev_i32_e32 v20, 24, v2
	v_ashrrev_i32_e32 v21, 4, v2
	v_ashrrev_i32_e32 v23, 20, v2
	v_ashrrev_i32_e32 v24, 12, v2
	v_ashrrev_i32_e32 v25, 28, v2
	v_ashrrev_i32_e32 v26, 16, v3
	v_ashrrev_i32_e32 v27, 8, v3
	v_ashrrev_i32_e32 v28, 24, v3
	v_ashrrev_i32_e32 v29, 4, v3
	v_ashrrev_i32_e32 v30, 20, v3
	v_ashrrev_i32_e32 v31, 12, v3
	v_ashrrev_i32_e32 v32, 28, v3
	v_ashrrev_i32_e32 v10, 16, v1
	v_ashrrev_i32_e32 v11, 8, v1
	v_ashrrev_i32_e32 v12, 24, v1
	v_ashrrev_i32_e32 v13, 4, v1
	v_ashrrev_i32_e32 v14, 20, v1
	v_ashrrev_i32_e32 v15, 12, v1
	v_ashrrev_i32_e32 v16, 28, v1
	v_ashrrev_i32_e32 v17, 16, v2
	v_ashrrev_i32_e32 v18, 8, v2
	;;#ASMSTART
	v_cvt_off_f32_i4 v33, v4
	;;#ASMEND
	;;#ASMSTART
	v_cvt_off_f32_i4 v34, v5
	;;#ASMEND
	;; [unrolled: 3-line block ×31, first 2 shown]
	scratch_load_b128 v[0:3], off, s33 offset:32
	v_dual_mov_b32 v4, 0 :: v_dual_mov_b32 v5, 0
	v_mov_b32_e32 v8, 0
	v_dual_mov_b32 v6, 0 :: v_dual_mov_b32 v7, 0
	v_dual_mov_b32 v10, 0 :: v_dual_mov_b32 v9, 0
	;; [unrolled: 1-line block ×3, first 2 shown]
	v_mov_b32_e32 v14, 0
	v_cvt_pk_fp8_f32 v4, v19, v33
	v_cvt_pk_fp8_f32 v5, v34, v35
	;; [unrolled: 1-line block ×8, first 2 shown]
	v_cvt_pk_fp8_f32 v4, v36, v37 op_sel:[0,0,1]
	v_cvt_pk_fp8_f32 v5, v38, v39 op_sel:[0,0,1]
	;; [unrolled: 1-line block ×4, first 2 shown]
	v_dual_mov_b32 v13, 0 :: v_dual_mov_b32 v16, 0
	v_dual_mov_b32 v15, 0 :: v_dual_mov_b32 v18, 0
	v_cvt_pk_fp8_f32 v8, v21, v23 op_sel:[0,0,1]
	v_cvt_pk_fp8_f32 v9, v24, v25 op_sel:[0,0,1]
	;; [unrolled: 1-line block ×4, first 2 shown]
	s_wait_alu 0xfffe
	v_dual_mov_b32 v17, 0 :: v_dual_mov_b32 v26, s7
	v_dual_mov_b32 v19, 0 :: v_dual_mov_b32 v24, s5
	s_clause 0x1
	scratch_store_b128 off, v[4:7], s33 offset:608
	scratch_store_b128 off, v[8:11], s33 offset:624
	s_wait_loadcnt 0x0
	;;#ASMSTART
	v_cvt_off_f32_i4 v4, v0
	;;#ASMEND
	v_mov_b32_e32 v25, s6
	v_mov_b32_e32 v23, s4
	v_ashrrev_i32_e32 v5, 16, v0
	v_ashrrev_i32_e32 v6, 8, v0
	;; [unrolled: 1-line block ×24, first 2 shown]
	;;#ASMSTART
	v_cvt_off_f32_i4 v5, v5
	;;#ASMEND
	;;#ASMSTART
	v_cvt_off_f32_i4 v6, v6
	;;#ASMEND
	;; [unrolled: 3-line block ×11, first 2 shown]
	v_cvt_pk_fp8_f32 v12, v4, v5
	v_cvt_pk_fp8_f32 v13, v6, v7
	;; [unrolled: 1-line block ×4, first 2 shown]
	v_ashrrev_i32_e32 v49, 4, v3
	v_ashrrev_i32_e32 v50, 20, v3
	v_ashrrev_i32_e32 v51, 12, v3
	v_ashrrev_i32_e32 v103, 28, v3
	;;#ASMSTART
	v_cvt_off_f32_i4 v27, v27
	;;#ASMEND
	;;#ASMSTART
	v_cvt_off_f32_i4 v28, v28
	;;#ASMEND
	;; [unrolled: 3-line block ×16, first 2 shown]
	v_cvt_pk_fp8_f32 v16, v2, v31
	v_cvt_pk_fp8_f32 v17, v32, v33
	;; [unrolled: 1-line block ×4, first 2 shown]
	v_cvt_pk_fp8_f32 v12, v8, v9 op_sel:[0,0,1]
	v_cvt_pk_fp8_f32 v13, v10, v0 op_sel:[0,0,1]
	;; [unrolled: 1-line block ×4, first 2 shown]
	;;#ASMSTART
	v_cvt_off_f32_i4 v49, v49
	;;#ASMEND
	;;#ASMSTART
	v_cvt_off_f32_i4 v50, v50
	;;#ASMEND
	;; [unrolled: 3-line block ×4, first 2 shown]
	s_clause 0x1f
	flat_store_b128 v[52:53], v[23:26]
	flat_store_b128 v[52:53], v[23:26] offset:16
	flat_store_b128 v[52:53], v[23:26] offset:32
	;; [unrolled: 1-line block ×31, first 2 shown]
	s_clause 0x19
	flat_store_b128 v[52:53], v[23:26] offset:512
	flat_store_b128 v[52:53], v[23:26] offset:528
	;; [unrolled: 1-line block ×26, first 2 shown]
	v_cvt_pk_fp8_f32 v16, v34, v35 op_sel:[0,0,1]
	v_cvt_pk_fp8_f32 v17, v36, v37 op_sel:[0,0,1]
	;; [unrolled: 1-line block ×4, first 2 shown]
	s_clause 0x3
	flat_store_b128 v[52:53], v[23:26] offset:928
	flat_store_b128 v[52:53], v[23:26] offset:944
	;; [unrolled: 1-line block ×4, first 2 shown]
	s_clause 0x1
	scratch_store_b128 off, v[12:15], s33 offset:544
	scratch_store_b128 off, v[16:19], s33 offset:560
	s_clause 0x1
	flat_store_b128 v[52:53], v[23:26] offset:992
	flat_store_b128 v[52:53], v[23:26] offset:1008
	; sched_barrier mask(0x00000000)
	s_movk_i32 s0, 0x100
	v_dual_mov_b32 v135, 1 :: v_dual_add_nc_u32 v134, -2, v22
	v_mov_b32_e32 v133, 0x31004000
	s_wait_alu 0xfffe
	s_add_co_i32 s6, s33, s0
	s_add_co_i32 s5, s33, s0
	s_wait_alu 0xfffe
	s_addk_co_i32 s6, 0x200
	s_mov_b32 s7, s1
	s_mov_b32 s12, 0
	s_branch .LBB6_64
.LBB6_63:                               ;   in Loop: Header=BB6_64 Depth=1
	s_wait_alu 0xfffe
	s_or_b32 exec_lo, exec_lo, s0
	scratch_load_b128 v[8:11], off, s33 offset:768
	s_clause 0x1
	flat_load_b128 v[4:7], v[52:53] offset:272
	flat_load_b128 v[0:3], v[52:53] offset:256
	s_clause 0x6
	scratch_load_b128 v[12:15], off, s33 offset:784
	scratch_load_b128 v[16:19], off, s33 offset:832
	;; [unrolled: 1-line block ×7, first 2 shown]
	s_getpc_b64 s[2:3]
	s_wait_alu 0xfffe
	s_sext_i32_i16 s3, s3
	s_add_co_u32 s2, s2, _ZNK2ck44ThreadwiseTensorSliceTransfer_StaticToStaticINS_7pk_i4_tENS_9f8_fnuz_tEKNS_16TensorDescriptorINS_5TupleIJNS_7UnMergeINS4_IJNS_17integral_constantIiLi4EEENS6_IiLi1EEENS6_IiLi2EEENS6_IiLi32EEEEEELb0EEEEEENS4_IJNS_8SequenceIJLi0EEEEEEENS4_IJNSE_IJLi1ELi2ELi3ELi4EEEEEEESH_NS6_IlLl256EEEEESL_NS_16tensor_operation12element_wise11PassThroughENSE_IJLi4ELi1ELi2ELi32EEEENSE_IJLi1ELi2ELi0ELi3EEEELi3ELi32ELb0EE3RunINS4_IJNS6_IiLi0EEEST_ST_ST_EEESU_NS_12StaticBufferILNS_16AddressSpaceEnumE4ES1_Li256ELb1EEENSV_ILSW_4ES2_Li256ELb1EEEEEvRSL_RKT_RKT1_SZ_RKT0_RT2_@rel32@lo+12
	s_wait_alu 0xfffe
	s_add_co_ci_u32 s3, s3, _ZNK2ck44ThreadwiseTensorSliceTransfer_StaticToStaticINS_7pk_i4_tENS_9f8_fnuz_tEKNS_16TensorDescriptorINS_5TupleIJNS_7UnMergeINS4_IJNS_17integral_constantIiLi4EEENS6_IiLi1EEENS6_IiLi2EEENS6_IiLi32EEEEEELb0EEEEEENS4_IJNS_8SequenceIJLi0EEEEEEENS4_IJNSE_IJLi1ELi2ELi3ELi4EEEEEEESH_NS6_IlLl256EEEEESL_NS_16tensor_operation12element_wise11PassThroughENSE_IJLi4ELi1ELi2ELi32EEEENSE_IJLi1ELi2ELi0ELi3EEEELi3ELi32ELb0EE3RunINS4_IJNS6_IiLi0EEEST_ST_ST_EEESU_NS_12StaticBufferILNS_16AddressSpaceEnumE4ES1_Li256ELb1EEENSV_ILSW_4ES2_Li256ELb1EEEEEvRSL_RKT_RKT1_SZ_RKT0_RT2_@rel32@hi+24
	s_wait_loadcnt_dscnt 0x700
	v_wmma_f32_16x16x16_fp8_fp8 v[0:7], v[116:117], v[8:9], v[0:7]
	s_delay_alu instid0(VALU_DEP_1) | instskip(SKIP_3) | instid1(VALU_DEP_1)
	v_wmma_f32_16x16x16_fp8_fp8 v[0:7], v[118:119], v[10:11], v[0:7]
	flat_load_b128 v[8:11], v[52:53] offset:288
	s_wait_loadcnt 0x7
	v_wmma_f32_16x16x16_fp8_fp8 v[0:7], v[128:129], v[12:13], v[0:7]
	v_wmma_f32_16x16x16_fp8_fp8 v[0:7], v[130:131], v[14:15], v[0:7]
	flat_load_b128 v[12:15], v[52:53] offset:304
	s_wait_loadcnt_dscnt 0x0
	v_wmma_f32_16x16x16_fp8_fp8 v[8:15], v[116:117], v[16:17], v[8:15]
	s_delay_alu instid0(VALU_DEP_1) | instskip(SKIP_2) | instid1(VALU_DEP_1)
	v_wmma_f32_16x16x16_fp8_fp8 v[8:15], v[118:119], v[18:19], v[8:15]
	flat_load_b128 v[16:19], v[52:53] offset:320
	v_wmma_f32_16x16x16_fp8_fp8 v[8:15], v[128:129], v[20:21], v[8:15]
	v_wmma_f32_16x16x16_fp8_fp8 v[8:15], v[130:131], v[22:23], v[8:15]
	flat_load_b128 v[20:23], v[52:53] offset:336
	s_wait_loadcnt_dscnt 0x0
	v_wmma_f32_16x16x16_fp8_fp8 v[16:23], v[116:117], v[24:25], v[16:23]
	s_delay_alu instid0(VALU_DEP_1) | instskip(SKIP_2) | instid1(VALU_DEP_1)
	v_wmma_f32_16x16x16_fp8_fp8 v[16:23], v[118:119], v[26:27], v[16:23]
	flat_load_b128 v[24:27], v[52:53] offset:352
	v_wmma_f32_16x16x16_fp8_fp8 v[16:23], v[128:129], v[28:29], v[16:23]
	v_wmma_f32_16x16x16_fp8_fp8 v[16:23], v[130:131], v[30:31], v[16:23]
	flat_load_b128 v[28:31], v[52:53] offset:368
	s_wait_loadcnt_dscnt 0x0
	v_wmma_f32_16x16x16_fp8_fp8 v[24:31], v[116:117], v[32:33], v[24:31]
	s_delay_alu instid0(VALU_DEP_1) | instskip(SKIP_2) | instid1(VALU_DEP_1)
	v_wmma_f32_16x16x16_fp8_fp8 v[24:31], v[118:119], v[34:35], v[24:31]
	scratch_load_b128 v[32:35], off, s33 offset:800
	v_wmma_f32_16x16x16_fp8_fp8 v[24:31], v[128:129], v[36:37], v[24:31]
	v_wmma_f32_16x16x16_fp8_fp8 v[24:31], v[130:131], v[38:39], v[24:31]
	scratch_load_b128 v[36:39], off, s33 offset:816
	s_wait_loadcnt 0x1
	v_wmma_f32_16x16x16_fp8_fp8 v[0:7], v[98:99], v[32:33], v[0:7]
	s_delay_alu instid0(VALU_DEP_1) | instskip(SKIP_1) | instid1(VALU_DEP_1)
	v_wmma_f32_16x16x16_fp8_fp8 v[0:7], v[100:101], v[34:35], v[0:7]
	s_wait_loadcnt 0x0
	v_wmma_f32_16x16x16_fp8_fp8 v[0:7], v[112:113], v[36:37], v[0:7]
	s_delay_alu instid0(VALU_DEP_1)
	v_wmma_f32_16x16x16_fp8_fp8 v[0:7], v[114:115], v[38:39], v[0:7]
	flat_store_b128 v[52:53], v[0:3] offset:256
	scratch_load_b128 v[0:3], off, s33 offset:864
	flat_store_b128 v[52:53], v[4:7] offset:272
	scratch_load_b128 v[4:7], off, s33 offset:880
	s_wait_loadcnt 0x1
	v_nop
	v_wmma_f32_16x16x16_fp8_fp8 v[8:15], v[98:99], v[0:1], v[8:15]
	s_delay_alu instid0(VALU_DEP_1) | instskip(SKIP_3) | instid1(VALU_DEP_1)
	v_wmma_f32_16x16x16_fp8_fp8 v[8:15], v[100:101], v[2:3], v[8:15]
	scratch_load_b128 v[0:3], off, s33 offset:928
	s_wait_loadcnt 0x1
	v_wmma_f32_16x16x16_fp8_fp8 v[8:15], v[112:113], v[4:5], v[8:15]
	v_wmma_f32_16x16x16_fp8_fp8 v[8:15], v[114:115], v[6:7], v[8:15]
	scratch_load_b128 v[4:7], off, s33 offset:944
	s_clause 0x1
	flat_store_b128 v[52:53], v[12:15] offset:304
	flat_store_b128 v[52:53], v[8:11] offset:288
	s_wait_loadcnt 0x1
	v_wmma_f32_16x16x16_fp8_fp8 v[16:23], v[98:99], v[0:1], v[16:23]
	s_delay_alu instid0(VALU_DEP_1) | instskip(SKIP_3) | instid1(VALU_DEP_1)
	v_wmma_f32_16x16x16_fp8_fp8 v[16:23], v[100:101], v[2:3], v[16:23]
	scratch_load_b128 v[0:3], off, s33 offset:992
	s_wait_loadcnt 0x1
	v_wmma_f32_16x16x16_fp8_fp8 v[16:23], v[112:113], v[4:5], v[16:23]
	v_wmma_f32_16x16x16_fp8_fp8 v[16:23], v[114:115], v[6:7], v[16:23]
	scratch_load_b128 v[4:7], off, s33 offset:1008
	s_clause 0x1
	flat_store_b128 v[52:53], v[20:23] offset:336
	flat_store_b128 v[52:53], v[16:19] offset:320
	s_wait_loadcnt 0x1
	v_wmma_f32_16x16x16_fp8_fp8 v[24:31], v[98:99], v[0:1], v[24:31]
	s_delay_alu instid0(VALU_DEP_1) | instskip(SKIP_1) | instid1(VALU_DEP_1)
	v_wmma_f32_16x16x16_fp8_fp8 v[24:31], v[100:101], v[2:3], v[24:31]
	s_wait_loadcnt 0x0
	v_wmma_f32_16x16x16_fp8_fp8 v[24:31], v[112:113], v[4:5], v[24:31]
	s_delay_alu instid0(VALU_DEP_1)
	v_wmma_f32_16x16x16_fp8_fp8 v[24:31], v[114:115], v[6:7], v[24:31]
	s_clause 0x1
	flat_store_b128 v[52:53], v[28:31] offset:368
	flat_store_b128 v[52:53], v[24:27] offset:352
	s_clause 0x3
	flat_load_b64 v[7:8], v[64:65] offset:1148
	flat_load_b64 v[9:10], v[64:65] offset:1164
	flat_load_b128 v[0:3], v[64:65] offset:1176
	flat_load_b96 v[4:6], v[64:65] offset:1132
	s_wait_loadcnt_dscnt 0x202
	v_sub_nc_u32_e32 v7, v7, v10
	s_wait_loadcnt_dscnt 0x101
	v_add_nc_u32_e32 v0, v9, v0
	s_wait_loadcnt_dscnt 0x0
	v_sub_nc_u32_e32 v2, v4, v2
	v_add3_u32 v1, v7, v1, 0x60
	v_sub_nc_u32_e32 v7, v8, v9
	v_sub_nc_u32_e32 v8, v8, v0
	s_delay_alu instid0(VALU_DEP_3) | instskip(NEXT) | instid1(VALU_DEP_1)
	v_ashrrev_i32_e32 v10, 31, v1
	v_lshrrev_b32_e32 v10, 29, v10
	s_delay_alu instid0(VALU_DEP_1) | instskip(NEXT) | instid1(VALU_DEP_1)
	v_add_nc_u32_e32 v10, v1, v10
	v_and_b32_e32 v10, -8, v10
	s_delay_alu instid0(VALU_DEP_1) | instskip(SKIP_1) | instid1(VALU_DEP_2)
	v_sub_nc_u32_e32 v12, v1, v10
	v_sub_nc_u32_e32 v1, v1, v6
	v_xor_b32_e32 v7, v12, v7
	s_delay_alu instid0(VALU_DEP_2) | instskip(NEXT) | instid1(VALU_DEP_2)
	v_lshlrev_b32_e32 v1, 7, v1
	v_sub_nc_u32_e32 v6, v7, v5
	s_delay_alu instid0(VALU_DEP_2) | instskip(NEXT) | instid1(VALU_DEP_2)
	v_add_nc_u32_e32 v2, v2, v1
	v_lshlrev_b32_e32 v6, 4, v6
	s_delay_alu instid0(VALU_DEP_1)
	v_add3_u32 v10, v1, v4, v6
	flat_load_b64 v[6:7], v[54:55] offset:16
	v_ashrrev_i32_e32 v11, 31, v10
	s_wait_loadcnt_dscnt 0x0
	v_add_co_u32 v10, vcc_lo, v6, v10
	s_wait_alu 0xfffd
	s_delay_alu instid0(VALU_DEP_2) | instskip(SKIP_2) | instid1(VALU_DEP_1)
	v_add_co_ci_u32_e64 v11, null, v7, v11, vcc_lo
	flat_load_b128 v[98:101], v[10:11]
	v_add_nc_u32_e32 v10, 16, v3
	v_ashrrev_i32_e32 v11, 31, v10
	s_delay_alu instid0(VALU_DEP_1) | instskip(NEXT) | instid1(VALU_DEP_1)
	v_lshrrev_b32_e32 v11, 28, v11
	v_add_nc_u32_e32 v11, v10, v11
	s_delay_alu instid0(VALU_DEP_1) | instskip(SKIP_1) | instid1(VALU_DEP_2)
	v_lshrrev_b32_e32 v13, 4, v11
	v_and_b32_e32 v11, -16, v11
	v_add_nc_u32_e32 v0, v13, v8
	s_delay_alu instid0(VALU_DEP_2) | instskip(NEXT) | instid1(VALU_DEP_2)
	v_sub_nc_u32_e32 v10, v10, v11
	v_xor_b32_e32 v0, v0, v12
	s_delay_alu instid0(VALU_DEP_1) | instskip(NEXT) | instid1(VALU_DEP_1)
	v_sub_nc_u32_e32 v0, v0, v5
	v_lshlrev_b32_e32 v0, 4, v0
	s_delay_alu instid0(VALU_DEP_1) | instskip(NEXT) | instid1(VALU_DEP_1)
	v_add3_u32 v0, v10, v2, v0
	v_ashrrev_i32_e32 v1, 31, v0
	v_add_co_u32 v0, vcc_lo, v6, v0
	s_wait_alu 0xfffd
	s_delay_alu instid0(VALU_DEP_2) | instskip(SKIP_2) | instid1(VALU_DEP_1)
	v_add_co_ci_u32_e64 v1, null, v7, v1, vcc_lo
	flat_load_b128 v[112:115], v[0:1]
	v_add_nc_u32_e32 v0, 64, v3
	v_ashrrev_i32_e32 v1, 31, v0
	s_delay_alu instid0(VALU_DEP_1) | instskip(NEXT) | instid1(VALU_DEP_1)
	v_lshrrev_b32_e32 v1, 28, v1
	v_add_nc_u32_e32 v1, v0, v1
	s_delay_alu instid0(VALU_DEP_1) | instskip(SKIP_1) | instid1(VALU_DEP_1)
	v_lshrrev_b32_e32 v4, 4, v1
	v_and_b32_e32 v1, -16, v1
	v_sub_nc_u32_e32 v0, v0, v1
	s_delay_alu instid0(VALU_DEP_3) | instskip(NEXT) | instid1(VALU_DEP_1)
	v_add_nc_u32_e32 v1, v4, v8
	v_xor_b32_e32 v1, v1, v12
	s_delay_alu instid0(VALU_DEP_1) | instskip(NEXT) | instid1(VALU_DEP_1)
	v_sub_nc_u32_e32 v1, v1, v5
	v_lshlrev_b32_e32 v1, 4, v1
	s_delay_alu instid0(VALU_DEP_1) | instskip(NEXT) | instid1(VALU_DEP_1)
	v_add3_u32 v0, v0, v2, v1
	v_ashrrev_i32_e32 v1, 31, v0
	v_add_co_u32 v0, vcc_lo, v6, v0
	s_wait_alu 0xfffd
	s_delay_alu instid0(VALU_DEP_2) | instskip(SKIP_2) | instid1(VALU_DEP_1)
	v_add_co_ci_u32_e64 v1, null, v7, v1, vcc_lo
	flat_load_b128 v[116:119], v[0:1]
	v_add_nc_u32_e32 v0, 0x50, v3
	v_ashrrev_i32_e32 v1, 31, v0
	s_delay_alu instid0(VALU_DEP_1) | instskip(NEXT) | instid1(VALU_DEP_1)
	v_lshrrev_b32_e32 v1, 28, v1
	v_add_nc_u32_e32 v1, v0, v1
	s_delay_alu instid0(VALU_DEP_1) | instskip(SKIP_1) | instid1(VALU_DEP_1)
	v_lshrrev_b32_e32 v3, 4, v1
	v_and_b32_e32 v1, -16, v1
	v_sub_nc_u32_e32 v0, v0, v1
	s_delay_alu instid0(VALU_DEP_3) | instskip(SKIP_1) | instid1(VALU_DEP_2)
	v_add_nc_u32_e32 v1, v3, v8
	v_mov_b32_e32 v3, s7
	v_xor_b32_e32 v1, v1, v12
	s_delay_alu instid0(VALU_DEP_1) | instskip(NEXT) | instid1(VALU_DEP_1)
	v_sub_nc_u32_e32 v1, v1, v5
	v_lshlrev_b32_e32 v1, 4, v1
	s_delay_alu instid0(VALU_DEP_1) | instskip(SKIP_1) | instid1(VALU_DEP_2)
	v_add3_u32 v0, v0, v2, v1
	v_mov_b32_e32 v2, s6
	v_ashrrev_i32_e32 v1, 31, v0
	v_add_co_u32 v0, vcc_lo, v6, v0
	s_wait_alu 0xfffd
	s_delay_alu instid0(VALU_DEP_2)
	v_add_co_ci_u32_e64 v1, null, v7, v1, vcc_lo
	flat_load_b128 v[128:131], v[0:1]
	v_dual_mov_b32 v0, s5 :: v_dual_mov_b32 v1, s1
	s_wait_alu 0xfffe
	s_swappc_b64 s[30:31], s[2:3]
	; sched_group_barrier mask(0x00000008) size(3) SyncID(0)
	; sched_group_barrier mask(0x00000020) size(1) SyncID(0)
	;; [unrolled: 1-line block ×24, first 2 shown]
	; sched_barrier mask(0x00000000)
	scratch_load_b128 v[8:11], off, s33 offset:768
	s_clause 0x1
	flat_load_b128 v[4:7], v[52:53] offset:400
	flat_load_b128 v[0:3], v[52:53] offset:384
	s_clause 0x6
	scratch_load_b128 v[12:15], off, s33 offset:784
	scratch_load_b128 v[16:19], off, s33 offset:832
	;; [unrolled: 1-line block ×7, first 2 shown]
	s_wait_loadcnt_dscnt 0x700
	v_wmma_f32_16x16x16_fp8_fp8 v[0:7], v[98:99], v[8:9], v[0:7]
	s_delay_alu instid0(VALU_DEP_1) | instskip(SKIP_3) | instid1(VALU_DEP_1)
	v_wmma_f32_16x16x16_fp8_fp8 v[0:7], v[100:101], v[10:11], v[0:7]
	flat_load_b128 v[8:11], v[52:53] offset:416
	s_wait_loadcnt 0x7
	v_wmma_f32_16x16x16_fp8_fp8 v[0:7], v[112:113], v[12:13], v[0:7]
	v_wmma_f32_16x16x16_fp8_fp8 v[0:7], v[114:115], v[14:15], v[0:7]
	flat_load_b128 v[12:15], v[52:53] offset:432
	s_wait_loadcnt_dscnt 0x0
	v_wmma_f32_16x16x16_fp8_fp8 v[8:15], v[98:99], v[16:17], v[8:15]
	s_delay_alu instid0(VALU_DEP_1) | instskip(SKIP_2) | instid1(VALU_DEP_1)
	v_wmma_f32_16x16x16_fp8_fp8 v[8:15], v[100:101], v[18:19], v[8:15]
	flat_load_b128 v[16:19], v[52:53] offset:448
	v_wmma_f32_16x16x16_fp8_fp8 v[8:15], v[112:113], v[20:21], v[8:15]
	v_wmma_f32_16x16x16_fp8_fp8 v[8:15], v[114:115], v[22:23], v[8:15]
	flat_load_b128 v[20:23], v[52:53] offset:464
	s_wait_loadcnt_dscnt 0x0
	v_wmma_f32_16x16x16_fp8_fp8 v[16:23], v[98:99], v[24:25], v[16:23]
	s_delay_alu instid0(VALU_DEP_1) | instskip(SKIP_2) | instid1(VALU_DEP_1)
	v_wmma_f32_16x16x16_fp8_fp8 v[16:23], v[100:101], v[26:27], v[16:23]
	flat_load_b128 v[24:27], v[52:53] offset:480
	v_wmma_f32_16x16x16_fp8_fp8 v[16:23], v[112:113], v[28:29], v[16:23]
	v_wmma_f32_16x16x16_fp8_fp8 v[16:23], v[114:115], v[30:31], v[16:23]
	flat_load_b128 v[28:31], v[52:53] offset:496
	s_wait_loadcnt_dscnt 0x0
	v_wmma_f32_16x16x16_fp8_fp8 v[24:31], v[98:99], v[32:33], v[24:31]
	s_delay_alu instid0(VALU_DEP_1) | instskip(SKIP_2) | instid1(VALU_DEP_1)
	v_wmma_f32_16x16x16_fp8_fp8 v[24:31], v[100:101], v[34:35], v[24:31]
	scratch_load_b128 v[32:35], off, s33 offset:800
	v_wmma_f32_16x16x16_fp8_fp8 v[24:31], v[112:113], v[36:37], v[24:31]
	v_wmma_f32_16x16x16_fp8_fp8 v[24:31], v[114:115], v[38:39], v[24:31]
	scratch_load_b128 v[36:39], off, s33 offset:816
	s_wait_loadcnt 0x1
	v_wmma_f32_16x16x16_fp8_fp8 v[0:7], v[116:117], v[32:33], v[0:7]
	s_delay_alu instid0(VALU_DEP_1) | instskip(SKIP_1) | instid1(VALU_DEP_1)
	v_wmma_f32_16x16x16_fp8_fp8 v[0:7], v[118:119], v[34:35], v[0:7]
	s_wait_loadcnt 0x0
	v_wmma_f32_16x16x16_fp8_fp8 v[0:7], v[128:129], v[36:37], v[0:7]
	s_delay_alu instid0(VALU_DEP_1)
	v_wmma_f32_16x16x16_fp8_fp8 v[0:7], v[130:131], v[38:39], v[0:7]
	flat_store_b128 v[52:53], v[0:3] offset:384
	scratch_load_b128 v[0:3], off, s33 offset:864
	flat_store_b128 v[52:53], v[4:7] offset:400
	scratch_load_b128 v[4:7], off, s33 offset:880
	s_wait_loadcnt 0x1
	v_nop
	v_wmma_f32_16x16x16_fp8_fp8 v[8:15], v[116:117], v[0:1], v[8:15]
	s_delay_alu instid0(VALU_DEP_1) | instskip(SKIP_3) | instid1(VALU_DEP_1)
	v_wmma_f32_16x16x16_fp8_fp8 v[8:15], v[118:119], v[2:3], v[8:15]
	scratch_load_b128 v[0:3], off, s33 offset:928
	s_wait_loadcnt 0x1
	v_wmma_f32_16x16x16_fp8_fp8 v[8:15], v[128:129], v[4:5], v[8:15]
	v_wmma_f32_16x16x16_fp8_fp8 v[8:15], v[130:131], v[6:7], v[8:15]
	scratch_load_b128 v[4:7], off, s33 offset:944
	s_clause 0x1
	flat_store_b128 v[52:53], v[12:15] offset:432
	flat_store_b128 v[52:53], v[8:11] offset:416
	s_wait_loadcnt 0x1
	v_wmma_f32_16x16x16_fp8_fp8 v[16:23], v[116:117], v[0:1], v[16:23]
	s_delay_alu instid0(VALU_DEP_1) | instskip(SKIP_3) | instid1(VALU_DEP_1)
	v_wmma_f32_16x16x16_fp8_fp8 v[16:23], v[118:119], v[2:3], v[16:23]
	scratch_load_b128 v[0:3], off, s33 offset:992
	s_wait_loadcnt 0x1
	v_wmma_f32_16x16x16_fp8_fp8 v[16:23], v[128:129], v[4:5], v[16:23]
	v_wmma_f32_16x16x16_fp8_fp8 v[16:23], v[130:131], v[6:7], v[16:23]
	scratch_load_b128 v[4:7], off, s33 offset:1008
	s_clause 0x1
	flat_store_b128 v[52:53], v[20:23] offset:464
	flat_store_b128 v[52:53], v[16:19] offset:448
	s_wait_loadcnt 0x1
	v_wmma_f32_16x16x16_fp8_fp8 v[24:31], v[116:117], v[0:1], v[24:31]
	s_delay_alu instid0(VALU_DEP_1) | instskip(SKIP_1) | instid1(VALU_DEP_1)
	v_wmma_f32_16x16x16_fp8_fp8 v[24:31], v[118:119], v[2:3], v[24:31]
	s_wait_loadcnt 0x0
	v_wmma_f32_16x16x16_fp8_fp8 v[24:31], v[128:129], v[4:5], v[24:31]
	s_delay_alu instid0(VALU_DEP_1)
	v_wmma_f32_16x16x16_fp8_fp8 v[24:31], v[130:131], v[6:7], v[24:31]
	s_clause 0x1
	flat_store_b128 v[52:53], v[28:31] offset:496
	flat_store_b128 v[52:53], v[24:27] offset:480
	s_clause 0x3
	flat_load_b64 v[7:8], v[64:65] offset:1148
	flat_load_b64 v[9:10], v[64:65] offset:1164
	flat_load_b128 v[0:3], v[64:65] offset:1176
	flat_load_b96 v[4:6], v[64:65] offset:1132
	s_wait_loadcnt_dscnt 0x202
	v_sub_nc_u32_e32 v7, v7, v10
	s_wait_loadcnt_dscnt 0x101
	v_add_nc_u32_e32 v0, v9, v0
	s_wait_loadcnt_dscnt 0x0
	v_sub_nc_u32_e32 v2, v4, v2
	v_add3_u32 v1, v7, v1, 0x80
	v_sub_nc_u32_e32 v7, v8, v9
	v_sub_nc_u32_e32 v8, v8, v0
	s_delay_alu instid0(VALU_DEP_3) | instskip(NEXT) | instid1(VALU_DEP_1)
	v_ashrrev_i32_e32 v10, 31, v1
	v_lshrrev_b32_e32 v10, 29, v10
	s_delay_alu instid0(VALU_DEP_1) | instskip(NEXT) | instid1(VALU_DEP_1)
	v_add_nc_u32_e32 v10, v1, v10
	v_and_b32_e32 v10, -8, v10
	s_delay_alu instid0(VALU_DEP_1) | instskip(SKIP_1) | instid1(VALU_DEP_2)
	v_sub_nc_u32_e32 v12, v1, v10
	v_sub_nc_u32_e32 v1, v1, v6
	v_xor_b32_e32 v7, v12, v7
	s_delay_alu instid0(VALU_DEP_2) | instskip(NEXT) | instid1(VALU_DEP_2)
	v_lshlrev_b32_e32 v1, 7, v1
	v_sub_nc_u32_e32 v6, v7, v5
	s_delay_alu instid0(VALU_DEP_2) | instskip(NEXT) | instid1(VALU_DEP_2)
	v_add_nc_u32_e32 v2, v2, v1
	v_lshlrev_b32_e32 v6, 4, v6
	s_delay_alu instid0(VALU_DEP_1)
	v_add3_u32 v10, v1, v4, v6
	flat_load_b64 v[6:7], v[54:55] offset:16
	v_ashrrev_i32_e32 v11, 31, v10
	s_wait_loadcnt_dscnt 0x0
	v_add_co_u32 v10, vcc_lo, v6, v10
	s_wait_alu 0xfffd
	s_delay_alu instid0(VALU_DEP_2) | instskip(SKIP_2) | instid1(VALU_DEP_1)
	v_add_co_ci_u32_e64 v11, null, v7, v11, vcc_lo
	flat_load_b128 v[98:101], v[10:11]
	v_add_nc_u32_e32 v10, 16, v3
	v_ashrrev_i32_e32 v11, 31, v10
	s_delay_alu instid0(VALU_DEP_1) | instskip(NEXT) | instid1(VALU_DEP_1)
	v_lshrrev_b32_e32 v11, 28, v11
	v_add_nc_u32_e32 v11, v10, v11
	s_delay_alu instid0(VALU_DEP_1) | instskip(SKIP_1) | instid1(VALU_DEP_2)
	v_lshrrev_b32_e32 v13, 4, v11
	v_and_b32_e32 v11, -16, v11
	v_add_nc_u32_e32 v0, v13, v8
	s_delay_alu instid0(VALU_DEP_2) | instskip(NEXT) | instid1(VALU_DEP_2)
	v_sub_nc_u32_e32 v10, v10, v11
	v_xor_b32_e32 v0, v0, v12
	s_delay_alu instid0(VALU_DEP_1) | instskip(NEXT) | instid1(VALU_DEP_1)
	v_sub_nc_u32_e32 v0, v0, v5
	v_lshlrev_b32_e32 v0, 4, v0
	s_delay_alu instid0(VALU_DEP_1) | instskip(NEXT) | instid1(VALU_DEP_1)
	v_add3_u32 v0, v10, v2, v0
	v_ashrrev_i32_e32 v1, 31, v0
	v_add_co_u32 v0, vcc_lo, v6, v0
	s_wait_alu 0xfffd
	s_delay_alu instid0(VALU_DEP_2) | instskip(SKIP_2) | instid1(VALU_DEP_1)
	v_add_co_ci_u32_e64 v1, null, v7, v1, vcc_lo
	flat_load_b128 v[112:115], v[0:1]
	v_add_nc_u32_e32 v0, 64, v3
	v_ashrrev_i32_e32 v1, 31, v0
	s_delay_alu instid0(VALU_DEP_1) | instskip(NEXT) | instid1(VALU_DEP_1)
	v_lshrrev_b32_e32 v1, 28, v1
	v_add_nc_u32_e32 v1, v0, v1
	s_delay_alu instid0(VALU_DEP_1) | instskip(SKIP_1) | instid1(VALU_DEP_1)
	v_lshrrev_b32_e32 v4, 4, v1
	v_and_b32_e32 v1, -16, v1
	v_sub_nc_u32_e32 v0, v0, v1
	s_delay_alu instid0(VALU_DEP_3) | instskip(NEXT) | instid1(VALU_DEP_1)
	v_add_nc_u32_e32 v1, v4, v8
	v_xor_b32_e32 v1, v1, v12
	s_delay_alu instid0(VALU_DEP_1) | instskip(NEXT) | instid1(VALU_DEP_1)
	v_sub_nc_u32_e32 v1, v1, v5
	v_lshlrev_b32_e32 v1, 4, v1
	s_delay_alu instid0(VALU_DEP_1) | instskip(NEXT) | instid1(VALU_DEP_1)
	v_add3_u32 v0, v0, v2, v1
	v_ashrrev_i32_e32 v1, 31, v0
	v_add_co_u32 v0, vcc_lo, v6, v0
	s_wait_alu 0xfffd
	s_delay_alu instid0(VALU_DEP_2) | instskip(SKIP_2) | instid1(VALU_DEP_1)
	v_add_co_ci_u32_e64 v1, null, v7, v1, vcc_lo
	flat_load_b128 v[116:119], v[0:1]
	v_add_nc_u32_e32 v0, 0x50, v3
	v_ashrrev_i32_e32 v1, 31, v0
	s_delay_alu instid0(VALU_DEP_1) | instskip(NEXT) | instid1(VALU_DEP_1)
	v_lshrrev_b32_e32 v1, 28, v1
	v_add_nc_u32_e32 v1, v0, v1
	s_delay_alu instid0(VALU_DEP_1) | instskip(SKIP_1) | instid1(VALU_DEP_1)
	v_lshrrev_b32_e32 v3, 4, v1
	v_and_b32_e32 v1, -16, v1
	v_sub_nc_u32_e32 v0, v0, v1
	s_delay_alu instid0(VALU_DEP_3) | instskip(SKIP_1) | instid1(VALU_DEP_2)
	v_add_nc_u32_e32 v1, v3, v8
	v_mov_b32_e32 v3, s7
	v_xor_b32_e32 v1, v1, v12
	s_delay_alu instid0(VALU_DEP_1) | instskip(NEXT) | instid1(VALU_DEP_1)
	v_sub_nc_u32_e32 v1, v1, v5
	v_lshlrev_b32_e32 v1, 4, v1
	s_delay_alu instid0(VALU_DEP_1) | instskip(SKIP_1) | instid1(VALU_DEP_2)
	v_add3_u32 v0, v0, v2, v1
	v_mov_b32_e32 v2, s6
	v_ashrrev_i32_e32 v1, 31, v0
	v_add_co_u32 v0, vcc_lo, v6, v0
	s_wait_alu 0xfffd
	s_delay_alu instid0(VALU_DEP_2)
	v_add_co_ci_u32_e64 v1, null, v7, v1, vcc_lo
	flat_load_b128 v[128:131], v[0:1]
	v_dual_mov_b32 v0, s5 :: v_dual_mov_b32 v1, s1
	s_wait_alu 0xfffe
	s_swappc_b64 s[30:31], s[2:3]
	; sched_group_barrier mask(0x00000008) size(8) SyncID(0)
	; sched_group_barrier mask(0x00000100) size(1) SyncID(0)
	;; [unrolled: 1-line block ×8, first 2 shown]
	; sched_barrier mask(0x00000000)
	scratch_load_b128 v[8:11], off, s33 offset:768
	s_clause 0x1
	flat_load_b128 v[4:7], v[52:53] offset:528
	flat_load_b128 v[0:3], v[52:53] offset:512
	s_clause 0x6
	scratch_load_b128 v[12:15], off, s33 offset:784
	scratch_load_b128 v[16:19], off, s33 offset:832
	;; [unrolled: 1-line block ×7, first 2 shown]
	s_wait_loadcnt_dscnt 0x700
	v_wmma_f32_16x16x16_fp8_fp8 v[0:7], v[98:99], v[8:9], v[0:7]
	s_delay_alu instid0(VALU_DEP_1) | instskip(SKIP_3) | instid1(VALU_DEP_1)
	v_wmma_f32_16x16x16_fp8_fp8 v[0:7], v[100:101], v[10:11], v[0:7]
	flat_load_b128 v[8:11], v[52:53] offset:544
	s_wait_loadcnt 0x7
	v_wmma_f32_16x16x16_fp8_fp8 v[0:7], v[112:113], v[12:13], v[0:7]
	v_wmma_f32_16x16x16_fp8_fp8 v[0:7], v[114:115], v[14:15], v[0:7]
	flat_load_b128 v[12:15], v[52:53] offset:560
	s_wait_loadcnt_dscnt 0x0
	v_wmma_f32_16x16x16_fp8_fp8 v[8:15], v[98:99], v[16:17], v[8:15]
	s_delay_alu instid0(VALU_DEP_1) | instskip(SKIP_2) | instid1(VALU_DEP_1)
	v_wmma_f32_16x16x16_fp8_fp8 v[8:15], v[100:101], v[18:19], v[8:15]
	flat_load_b128 v[16:19], v[52:53] offset:576
	v_wmma_f32_16x16x16_fp8_fp8 v[8:15], v[112:113], v[20:21], v[8:15]
	v_wmma_f32_16x16x16_fp8_fp8 v[8:15], v[114:115], v[22:23], v[8:15]
	flat_load_b128 v[20:23], v[52:53] offset:592
	s_wait_loadcnt_dscnt 0x0
	v_wmma_f32_16x16x16_fp8_fp8 v[16:23], v[98:99], v[24:25], v[16:23]
	s_delay_alu instid0(VALU_DEP_1) | instskip(SKIP_2) | instid1(VALU_DEP_1)
	v_wmma_f32_16x16x16_fp8_fp8 v[16:23], v[100:101], v[26:27], v[16:23]
	flat_load_b128 v[24:27], v[52:53] offset:608
	v_wmma_f32_16x16x16_fp8_fp8 v[16:23], v[112:113], v[28:29], v[16:23]
	v_wmma_f32_16x16x16_fp8_fp8 v[16:23], v[114:115], v[30:31], v[16:23]
	flat_load_b128 v[28:31], v[52:53] offset:624
	s_wait_loadcnt_dscnt 0x0
	v_wmma_f32_16x16x16_fp8_fp8 v[24:31], v[98:99], v[32:33], v[24:31]
	s_delay_alu instid0(VALU_DEP_1) | instskip(SKIP_2) | instid1(VALU_DEP_1)
	v_wmma_f32_16x16x16_fp8_fp8 v[24:31], v[100:101], v[34:35], v[24:31]
	scratch_load_b128 v[32:35], off, s33 offset:800
	v_wmma_f32_16x16x16_fp8_fp8 v[24:31], v[112:113], v[36:37], v[24:31]
	v_wmma_f32_16x16x16_fp8_fp8 v[24:31], v[114:115], v[38:39], v[24:31]
	scratch_load_b128 v[36:39], off, s33 offset:816
	s_wait_loadcnt 0x1
	v_wmma_f32_16x16x16_fp8_fp8 v[0:7], v[116:117], v[32:33], v[0:7]
	s_delay_alu instid0(VALU_DEP_1) | instskip(SKIP_1) | instid1(VALU_DEP_1)
	v_wmma_f32_16x16x16_fp8_fp8 v[0:7], v[118:119], v[34:35], v[0:7]
	s_wait_loadcnt 0x0
	v_wmma_f32_16x16x16_fp8_fp8 v[0:7], v[128:129], v[36:37], v[0:7]
	s_delay_alu instid0(VALU_DEP_1)
	v_wmma_f32_16x16x16_fp8_fp8 v[0:7], v[130:131], v[38:39], v[0:7]
	flat_store_b128 v[52:53], v[0:3] offset:512
	scratch_load_b128 v[0:3], off, s33 offset:864
	flat_store_b128 v[52:53], v[4:7] offset:528
	scratch_load_b128 v[4:7], off, s33 offset:880
	s_wait_loadcnt 0x1
	v_nop
	v_wmma_f32_16x16x16_fp8_fp8 v[8:15], v[116:117], v[0:1], v[8:15]
	s_delay_alu instid0(VALU_DEP_1) | instskip(SKIP_3) | instid1(VALU_DEP_1)
	v_wmma_f32_16x16x16_fp8_fp8 v[8:15], v[118:119], v[2:3], v[8:15]
	scratch_load_b128 v[0:3], off, s33 offset:928
	s_wait_loadcnt 0x1
	v_wmma_f32_16x16x16_fp8_fp8 v[8:15], v[128:129], v[4:5], v[8:15]
	v_wmma_f32_16x16x16_fp8_fp8 v[8:15], v[130:131], v[6:7], v[8:15]
	scratch_load_b128 v[4:7], off, s33 offset:944
	s_clause 0x1
	flat_store_b128 v[52:53], v[12:15] offset:560
	flat_store_b128 v[52:53], v[8:11] offset:544
	s_wait_loadcnt 0x1
	v_wmma_f32_16x16x16_fp8_fp8 v[16:23], v[116:117], v[0:1], v[16:23]
	s_delay_alu instid0(VALU_DEP_1) | instskip(SKIP_3) | instid1(VALU_DEP_1)
	v_wmma_f32_16x16x16_fp8_fp8 v[16:23], v[118:119], v[2:3], v[16:23]
	scratch_load_b128 v[0:3], off, s33 offset:992
	s_wait_loadcnt 0x1
	v_wmma_f32_16x16x16_fp8_fp8 v[16:23], v[128:129], v[4:5], v[16:23]
	v_wmma_f32_16x16x16_fp8_fp8 v[16:23], v[130:131], v[6:7], v[16:23]
	scratch_load_b128 v[4:7], off, s33 offset:1008
	s_clause 0x1
	flat_store_b128 v[52:53], v[20:23] offset:592
	flat_store_b128 v[52:53], v[16:19] offset:576
	s_wait_loadcnt 0x1
	v_wmma_f32_16x16x16_fp8_fp8 v[24:31], v[116:117], v[0:1], v[24:31]
	s_delay_alu instid0(VALU_DEP_1) | instskip(SKIP_1) | instid1(VALU_DEP_1)
	v_wmma_f32_16x16x16_fp8_fp8 v[24:31], v[118:119], v[2:3], v[24:31]
	s_wait_loadcnt 0x0
	v_wmma_f32_16x16x16_fp8_fp8 v[24:31], v[128:129], v[4:5], v[24:31]
	s_delay_alu instid0(VALU_DEP_1)
	v_wmma_f32_16x16x16_fp8_fp8 v[24:31], v[130:131], v[6:7], v[24:31]
	s_clause 0x1
	flat_store_b128 v[52:53], v[28:31] offset:624
	flat_store_b128 v[52:53], v[24:27] offset:608
	s_clause 0x3
	flat_load_b64 v[7:8], v[64:65] offset:1148
	flat_load_b64 v[9:10], v[64:65] offset:1164
	flat_load_b128 v[0:3], v[64:65] offset:1176
	flat_load_b96 v[4:6], v[64:65] offset:1132
	s_wait_loadcnt_dscnt 0x202
	v_sub_nc_u32_e32 v7, v7, v10
	s_wait_loadcnt_dscnt 0x101
	v_add_nc_u32_e32 v0, v9, v0
	s_wait_loadcnt_dscnt 0x0
	v_sub_nc_u32_e32 v2, v4, v2
	v_add3_u32 v1, v7, v1, 0xa0
	v_sub_nc_u32_e32 v7, v8, v9
	v_sub_nc_u32_e32 v8, v8, v0
	s_delay_alu instid0(VALU_DEP_3) | instskip(NEXT) | instid1(VALU_DEP_1)
	v_ashrrev_i32_e32 v10, 31, v1
	v_lshrrev_b32_e32 v10, 29, v10
	s_delay_alu instid0(VALU_DEP_1) | instskip(NEXT) | instid1(VALU_DEP_1)
	v_add_nc_u32_e32 v10, v1, v10
	v_and_b32_e32 v10, -8, v10
	s_delay_alu instid0(VALU_DEP_1) | instskip(SKIP_1) | instid1(VALU_DEP_2)
	v_sub_nc_u32_e32 v12, v1, v10
	v_sub_nc_u32_e32 v1, v1, v6
	v_xor_b32_e32 v7, v12, v7
	s_delay_alu instid0(VALU_DEP_2) | instskip(NEXT) | instid1(VALU_DEP_2)
	v_lshlrev_b32_e32 v1, 7, v1
	v_sub_nc_u32_e32 v6, v7, v5
	s_delay_alu instid0(VALU_DEP_2) | instskip(NEXT) | instid1(VALU_DEP_2)
	v_add_nc_u32_e32 v2, v2, v1
	v_lshlrev_b32_e32 v6, 4, v6
	s_delay_alu instid0(VALU_DEP_1)
	v_add3_u32 v10, v1, v4, v6
	flat_load_b64 v[6:7], v[54:55] offset:16
	v_ashrrev_i32_e32 v11, 31, v10
	s_wait_loadcnt_dscnt 0x0
	v_add_co_u32 v10, vcc_lo, v6, v10
	s_wait_alu 0xfffd
	s_delay_alu instid0(VALU_DEP_2) | instskip(SKIP_2) | instid1(VALU_DEP_1)
	v_add_co_ci_u32_e64 v11, null, v7, v11, vcc_lo
	flat_load_b128 v[98:101], v[10:11]
	v_add_nc_u32_e32 v10, 16, v3
	v_ashrrev_i32_e32 v11, 31, v10
	s_delay_alu instid0(VALU_DEP_1) | instskip(NEXT) | instid1(VALU_DEP_1)
	v_lshrrev_b32_e32 v11, 28, v11
	v_add_nc_u32_e32 v11, v10, v11
	s_delay_alu instid0(VALU_DEP_1) | instskip(SKIP_1) | instid1(VALU_DEP_2)
	v_lshrrev_b32_e32 v13, 4, v11
	v_and_b32_e32 v11, -16, v11
	v_add_nc_u32_e32 v0, v13, v8
	s_delay_alu instid0(VALU_DEP_2) | instskip(NEXT) | instid1(VALU_DEP_2)
	v_sub_nc_u32_e32 v10, v10, v11
	v_xor_b32_e32 v0, v0, v12
	s_delay_alu instid0(VALU_DEP_1) | instskip(NEXT) | instid1(VALU_DEP_1)
	v_sub_nc_u32_e32 v0, v0, v5
	v_lshlrev_b32_e32 v0, 4, v0
	s_delay_alu instid0(VALU_DEP_1) | instskip(NEXT) | instid1(VALU_DEP_1)
	v_add3_u32 v0, v10, v2, v0
	v_ashrrev_i32_e32 v1, 31, v0
	v_add_co_u32 v0, vcc_lo, v6, v0
	s_wait_alu 0xfffd
	s_delay_alu instid0(VALU_DEP_2) | instskip(SKIP_2) | instid1(VALU_DEP_1)
	v_add_co_ci_u32_e64 v1, null, v7, v1, vcc_lo
	flat_load_b128 v[112:115], v[0:1]
	v_add_nc_u32_e32 v0, 64, v3
	v_ashrrev_i32_e32 v1, 31, v0
	s_delay_alu instid0(VALU_DEP_1) | instskip(NEXT) | instid1(VALU_DEP_1)
	v_lshrrev_b32_e32 v1, 28, v1
	v_add_nc_u32_e32 v1, v0, v1
	s_delay_alu instid0(VALU_DEP_1) | instskip(SKIP_1) | instid1(VALU_DEP_1)
	v_lshrrev_b32_e32 v4, 4, v1
	v_and_b32_e32 v1, -16, v1
	v_sub_nc_u32_e32 v0, v0, v1
	s_delay_alu instid0(VALU_DEP_3) | instskip(NEXT) | instid1(VALU_DEP_1)
	v_add_nc_u32_e32 v1, v4, v8
	v_xor_b32_e32 v1, v1, v12
	s_delay_alu instid0(VALU_DEP_1) | instskip(NEXT) | instid1(VALU_DEP_1)
	v_sub_nc_u32_e32 v1, v1, v5
	v_lshlrev_b32_e32 v1, 4, v1
	s_delay_alu instid0(VALU_DEP_1) | instskip(NEXT) | instid1(VALU_DEP_1)
	v_add3_u32 v0, v0, v2, v1
	v_ashrrev_i32_e32 v1, 31, v0
	v_add_co_u32 v0, vcc_lo, v6, v0
	s_wait_alu 0xfffd
	s_delay_alu instid0(VALU_DEP_2) | instskip(SKIP_2) | instid1(VALU_DEP_1)
	v_add_co_ci_u32_e64 v1, null, v7, v1, vcc_lo
	flat_load_b128 v[116:119], v[0:1]
	v_add_nc_u32_e32 v0, 0x50, v3
	v_ashrrev_i32_e32 v1, 31, v0
	s_delay_alu instid0(VALU_DEP_1) | instskip(NEXT) | instid1(VALU_DEP_1)
	v_lshrrev_b32_e32 v1, 28, v1
	v_add_nc_u32_e32 v1, v0, v1
	s_delay_alu instid0(VALU_DEP_1) | instskip(SKIP_1) | instid1(VALU_DEP_1)
	v_lshrrev_b32_e32 v3, 4, v1
	v_and_b32_e32 v1, -16, v1
	v_sub_nc_u32_e32 v0, v0, v1
	s_delay_alu instid0(VALU_DEP_3) | instskip(SKIP_1) | instid1(VALU_DEP_2)
	v_add_nc_u32_e32 v1, v3, v8
	v_mov_b32_e32 v3, s7
	v_xor_b32_e32 v1, v1, v12
	s_delay_alu instid0(VALU_DEP_1) | instskip(NEXT) | instid1(VALU_DEP_1)
	v_sub_nc_u32_e32 v1, v1, v5
	v_lshlrev_b32_e32 v1, 4, v1
	s_delay_alu instid0(VALU_DEP_1) | instskip(SKIP_1) | instid1(VALU_DEP_2)
	v_add3_u32 v0, v0, v2, v1
	v_mov_b32_e32 v2, s6
	v_ashrrev_i32_e32 v1, 31, v0
	v_add_co_u32 v0, vcc_lo, v6, v0
	s_wait_alu 0xfffd
	s_delay_alu instid0(VALU_DEP_2)
	v_add_co_ci_u32_e64 v1, null, v7, v1, vcc_lo
	flat_load_b128 v[128:131], v[0:1]
	v_dual_mov_b32 v0, s5 :: v_dual_mov_b32 v1, s1
	s_wait_alu 0xfffe
	s_swappc_b64 s[30:31], s[2:3]
	; sched_group_barrier mask(0x00000008) size(8) SyncID(0)
	; sched_group_barrier mask(0x00000100) size(1) SyncID(0)
	;; [unrolled: 1-line block ×8, first 2 shown]
	; sched_barrier mask(0x00000000)
	scratch_load_b128 v[8:11], off, s33 offset:768
	s_clause 0x1
	flat_load_b128 v[4:7], v[52:53] offset:656
	flat_load_b128 v[0:3], v[52:53] offset:640
	s_clause 0x6
	scratch_load_b128 v[12:15], off, s33 offset:784
	scratch_load_b128 v[16:19], off, s33 offset:832
	;; [unrolled: 1-line block ×7, first 2 shown]
	s_wait_loadcnt_dscnt 0x700
	v_wmma_f32_16x16x16_fp8_fp8 v[0:7], v[98:99], v[8:9], v[0:7]
	s_delay_alu instid0(VALU_DEP_1) | instskip(SKIP_3) | instid1(VALU_DEP_1)
	v_wmma_f32_16x16x16_fp8_fp8 v[0:7], v[100:101], v[10:11], v[0:7]
	flat_load_b128 v[8:11], v[52:53] offset:672
	s_wait_loadcnt 0x7
	v_wmma_f32_16x16x16_fp8_fp8 v[0:7], v[112:113], v[12:13], v[0:7]
	v_wmma_f32_16x16x16_fp8_fp8 v[0:7], v[114:115], v[14:15], v[0:7]
	flat_load_b128 v[12:15], v[52:53] offset:688
	s_wait_loadcnt_dscnt 0x0
	v_wmma_f32_16x16x16_fp8_fp8 v[8:15], v[98:99], v[16:17], v[8:15]
	s_delay_alu instid0(VALU_DEP_1) | instskip(SKIP_2) | instid1(VALU_DEP_1)
	v_wmma_f32_16x16x16_fp8_fp8 v[8:15], v[100:101], v[18:19], v[8:15]
	flat_load_b128 v[16:19], v[52:53] offset:704
	v_wmma_f32_16x16x16_fp8_fp8 v[8:15], v[112:113], v[20:21], v[8:15]
	v_wmma_f32_16x16x16_fp8_fp8 v[8:15], v[114:115], v[22:23], v[8:15]
	flat_load_b128 v[20:23], v[52:53] offset:720
	s_wait_loadcnt_dscnt 0x0
	v_wmma_f32_16x16x16_fp8_fp8 v[16:23], v[98:99], v[24:25], v[16:23]
	s_delay_alu instid0(VALU_DEP_1) | instskip(SKIP_2) | instid1(VALU_DEP_1)
	v_wmma_f32_16x16x16_fp8_fp8 v[16:23], v[100:101], v[26:27], v[16:23]
	flat_load_b128 v[24:27], v[52:53] offset:736
	v_wmma_f32_16x16x16_fp8_fp8 v[16:23], v[112:113], v[28:29], v[16:23]
	v_wmma_f32_16x16x16_fp8_fp8 v[16:23], v[114:115], v[30:31], v[16:23]
	flat_load_b128 v[28:31], v[52:53] offset:752
	s_wait_loadcnt_dscnt 0x0
	v_wmma_f32_16x16x16_fp8_fp8 v[24:31], v[98:99], v[32:33], v[24:31]
	s_delay_alu instid0(VALU_DEP_1) | instskip(SKIP_2) | instid1(VALU_DEP_1)
	v_wmma_f32_16x16x16_fp8_fp8 v[24:31], v[100:101], v[34:35], v[24:31]
	scratch_load_b128 v[32:35], off, s33 offset:800
	v_wmma_f32_16x16x16_fp8_fp8 v[24:31], v[112:113], v[36:37], v[24:31]
	v_wmma_f32_16x16x16_fp8_fp8 v[24:31], v[114:115], v[38:39], v[24:31]
	scratch_load_b128 v[36:39], off, s33 offset:816
	s_wait_loadcnt 0x1
	v_wmma_f32_16x16x16_fp8_fp8 v[0:7], v[116:117], v[32:33], v[0:7]
	s_delay_alu instid0(VALU_DEP_1) | instskip(SKIP_1) | instid1(VALU_DEP_1)
	v_wmma_f32_16x16x16_fp8_fp8 v[0:7], v[118:119], v[34:35], v[0:7]
	s_wait_loadcnt 0x0
	v_wmma_f32_16x16x16_fp8_fp8 v[0:7], v[128:129], v[36:37], v[0:7]
	s_delay_alu instid0(VALU_DEP_1)
	v_wmma_f32_16x16x16_fp8_fp8 v[0:7], v[130:131], v[38:39], v[0:7]
	flat_store_b128 v[52:53], v[0:3] offset:640
	scratch_load_b128 v[0:3], off, s33 offset:864
	flat_store_b128 v[52:53], v[4:7] offset:656
	scratch_load_b128 v[4:7], off, s33 offset:880
	s_wait_loadcnt 0x1
	v_nop
	v_wmma_f32_16x16x16_fp8_fp8 v[8:15], v[116:117], v[0:1], v[8:15]
	s_delay_alu instid0(VALU_DEP_1) | instskip(SKIP_3) | instid1(VALU_DEP_1)
	v_wmma_f32_16x16x16_fp8_fp8 v[8:15], v[118:119], v[2:3], v[8:15]
	scratch_load_b128 v[0:3], off, s33 offset:928
	s_wait_loadcnt 0x1
	v_wmma_f32_16x16x16_fp8_fp8 v[8:15], v[128:129], v[4:5], v[8:15]
	v_wmma_f32_16x16x16_fp8_fp8 v[8:15], v[130:131], v[6:7], v[8:15]
	scratch_load_b128 v[4:7], off, s33 offset:944
	s_clause 0x1
	flat_store_b128 v[52:53], v[12:15] offset:688
	flat_store_b128 v[52:53], v[8:11] offset:672
	s_wait_loadcnt 0x1
	v_wmma_f32_16x16x16_fp8_fp8 v[16:23], v[116:117], v[0:1], v[16:23]
	s_delay_alu instid0(VALU_DEP_1) | instskip(SKIP_3) | instid1(VALU_DEP_1)
	v_wmma_f32_16x16x16_fp8_fp8 v[16:23], v[118:119], v[2:3], v[16:23]
	scratch_load_b128 v[0:3], off, s33 offset:992
	s_wait_loadcnt 0x1
	v_wmma_f32_16x16x16_fp8_fp8 v[16:23], v[128:129], v[4:5], v[16:23]
	v_wmma_f32_16x16x16_fp8_fp8 v[16:23], v[130:131], v[6:7], v[16:23]
	scratch_load_b128 v[4:7], off, s33 offset:1008
	s_clause 0x1
	flat_store_b128 v[52:53], v[20:23] offset:720
	flat_store_b128 v[52:53], v[16:19] offset:704
	s_wait_loadcnt 0x1
	v_wmma_f32_16x16x16_fp8_fp8 v[24:31], v[116:117], v[0:1], v[24:31]
	s_delay_alu instid0(VALU_DEP_1) | instskip(SKIP_1) | instid1(VALU_DEP_1)
	v_wmma_f32_16x16x16_fp8_fp8 v[24:31], v[118:119], v[2:3], v[24:31]
	s_wait_loadcnt 0x0
	v_wmma_f32_16x16x16_fp8_fp8 v[24:31], v[128:129], v[4:5], v[24:31]
	s_delay_alu instid0(VALU_DEP_1)
	v_wmma_f32_16x16x16_fp8_fp8 v[24:31], v[130:131], v[6:7], v[24:31]
	s_clause 0x1
	flat_store_b128 v[52:53], v[28:31] offset:752
	flat_store_b128 v[52:53], v[24:27] offset:736
	s_clause 0x3
	flat_load_b64 v[7:8], v[64:65] offset:1148
	flat_load_b64 v[9:10], v[64:65] offset:1164
	flat_load_b128 v[0:3], v[64:65] offset:1176
	flat_load_b96 v[4:6], v[64:65] offset:1132
	s_wait_loadcnt_dscnt 0x202
	v_sub_nc_u32_e32 v7, v7, v10
	s_wait_loadcnt_dscnt 0x101
	v_add_nc_u32_e32 v0, v9, v0
	s_wait_loadcnt_dscnt 0x0
	v_sub_nc_u32_e32 v2, v4, v2
	v_add3_u32 v1, v7, v1, 0xc0
	v_sub_nc_u32_e32 v7, v8, v9
	v_sub_nc_u32_e32 v8, v8, v0
	s_delay_alu instid0(VALU_DEP_3) | instskip(NEXT) | instid1(VALU_DEP_1)
	v_ashrrev_i32_e32 v10, 31, v1
	v_lshrrev_b32_e32 v10, 29, v10
	s_delay_alu instid0(VALU_DEP_1) | instskip(NEXT) | instid1(VALU_DEP_1)
	v_add_nc_u32_e32 v10, v1, v10
	v_and_b32_e32 v10, -8, v10
	s_delay_alu instid0(VALU_DEP_1) | instskip(SKIP_1) | instid1(VALU_DEP_2)
	v_sub_nc_u32_e32 v12, v1, v10
	v_sub_nc_u32_e32 v1, v1, v6
	v_xor_b32_e32 v7, v12, v7
	s_delay_alu instid0(VALU_DEP_2) | instskip(NEXT) | instid1(VALU_DEP_2)
	v_lshlrev_b32_e32 v1, 7, v1
	v_sub_nc_u32_e32 v6, v7, v5
	s_delay_alu instid0(VALU_DEP_2) | instskip(NEXT) | instid1(VALU_DEP_2)
	v_add_nc_u32_e32 v2, v2, v1
	v_lshlrev_b32_e32 v6, 4, v6
	s_delay_alu instid0(VALU_DEP_1)
	v_add3_u32 v10, v1, v4, v6
	flat_load_b64 v[6:7], v[54:55] offset:16
	v_ashrrev_i32_e32 v11, 31, v10
	s_wait_loadcnt_dscnt 0x0
	v_add_co_u32 v10, vcc_lo, v6, v10
	s_wait_alu 0xfffd
	s_delay_alu instid0(VALU_DEP_2) | instskip(SKIP_2) | instid1(VALU_DEP_1)
	v_add_co_ci_u32_e64 v11, null, v7, v11, vcc_lo
	flat_load_b128 v[98:101], v[10:11]
	v_add_nc_u32_e32 v10, 16, v3
	v_ashrrev_i32_e32 v11, 31, v10
	s_delay_alu instid0(VALU_DEP_1) | instskip(NEXT) | instid1(VALU_DEP_1)
	v_lshrrev_b32_e32 v11, 28, v11
	v_add_nc_u32_e32 v11, v10, v11
	s_delay_alu instid0(VALU_DEP_1) | instskip(SKIP_1) | instid1(VALU_DEP_2)
	v_lshrrev_b32_e32 v13, 4, v11
	v_and_b32_e32 v11, -16, v11
	v_add_nc_u32_e32 v0, v13, v8
	s_delay_alu instid0(VALU_DEP_2) | instskip(NEXT) | instid1(VALU_DEP_2)
	v_sub_nc_u32_e32 v10, v10, v11
	v_xor_b32_e32 v0, v0, v12
	s_delay_alu instid0(VALU_DEP_1) | instskip(NEXT) | instid1(VALU_DEP_1)
	v_sub_nc_u32_e32 v0, v0, v5
	v_lshlrev_b32_e32 v0, 4, v0
	s_delay_alu instid0(VALU_DEP_1) | instskip(NEXT) | instid1(VALU_DEP_1)
	v_add3_u32 v0, v10, v2, v0
	v_ashrrev_i32_e32 v1, 31, v0
	v_add_co_u32 v0, vcc_lo, v6, v0
	s_wait_alu 0xfffd
	s_delay_alu instid0(VALU_DEP_2) | instskip(SKIP_2) | instid1(VALU_DEP_1)
	v_add_co_ci_u32_e64 v1, null, v7, v1, vcc_lo
	flat_load_b128 v[112:115], v[0:1]
	v_add_nc_u32_e32 v0, 64, v3
	v_ashrrev_i32_e32 v1, 31, v0
	s_delay_alu instid0(VALU_DEP_1) | instskip(NEXT) | instid1(VALU_DEP_1)
	v_lshrrev_b32_e32 v1, 28, v1
	v_add_nc_u32_e32 v1, v0, v1
	s_delay_alu instid0(VALU_DEP_1) | instskip(SKIP_1) | instid1(VALU_DEP_1)
	v_lshrrev_b32_e32 v4, 4, v1
	v_and_b32_e32 v1, -16, v1
	v_sub_nc_u32_e32 v0, v0, v1
	s_delay_alu instid0(VALU_DEP_3) | instskip(NEXT) | instid1(VALU_DEP_1)
	v_add_nc_u32_e32 v1, v4, v8
	v_xor_b32_e32 v1, v1, v12
	s_delay_alu instid0(VALU_DEP_1) | instskip(NEXT) | instid1(VALU_DEP_1)
	v_sub_nc_u32_e32 v1, v1, v5
	v_lshlrev_b32_e32 v1, 4, v1
	s_delay_alu instid0(VALU_DEP_1) | instskip(NEXT) | instid1(VALU_DEP_1)
	v_add3_u32 v0, v0, v2, v1
	v_ashrrev_i32_e32 v1, 31, v0
	v_add_co_u32 v0, vcc_lo, v6, v0
	s_wait_alu 0xfffd
	s_delay_alu instid0(VALU_DEP_2) | instskip(SKIP_2) | instid1(VALU_DEP_1)
	v_add_co_ci_u32_e64 v1, null, v7, v1, vcc_lo
	flat_load_b128 v[116:119], v[0:1]
	v_add_nc_u32_e32 v0, 0x50, v3
	v_ashrrev_i32_e32 v1, 31, v0
	s_delay_alu instid0(VALU_DEP_1) | instskip(NEXT) | instid1(VALU_DEP_1)
	v_lshrrev_b32_e32 v1, 28, v1
	v_add_nc_u32_e32 v1, v0, v1
	s_delay_alu instid0(VALU_DEP_1) | instskip(SKIP_1) | instid1(VALU_DEP_1)
	v_lshrrev_b32_e32 v3, 4, v1
	v_and_b32_e32 v1, -16, v1
	v_sub_nc_u32_e32 v0, v0, v1
	s_delay_alu instid0(VALU_DEP_3) | instskip(SKIP_1) | instid1(VALU_DEP_2)
	v_add_nc_u32_e32 v1, v3, v8
	v_mov_b32_e32 v3, s7
	v_xor_b32_e32 v1, v1, v12
	s_delay_alu instid0(VALU_DEP_1) | instskip(NEXT) | instid1(VALU_DEP_1)
	v_sub_nc_u32_e32 v1, v1, v5
	v_lshlrev_b32_e32 v1, 4, v1
	s_delay_alu instid0(VALU_DEP_1) | instskip(SKIP_1) | instid1(VALU_DEP_2)
	v_add3_u32 v0, v0, v2, v1
	v_mov_b32_e32 v2, s6
	v_ashrrev_i32_e32 v1, 31, v0
	v_add_co_u32 v0, vcc_lo, v6, v0
	s_wait_alu 0xfffd
	s_delay_alu instid0(VALU_DEP_2)
	v_add_co_ci_u32_e64 v1, null, v7, v1, vcc_lo
	flat_load_b128 v[128:131], v[0:1]
	v_dual_mov_b32 v0, s5 :: v_dual_mov_b32 v1, s1
	s_wait_alu 0xfffe
	s_swappc_b64 s[30:31], s[2:3]
	; sched_group_barrier mask(0x00000008) size(8) SyncID(0)
	; sched_group_barrier mask(0x00000100) size(1) SyncID(0)
	;; [unrolled: 1-line block ×8, first 2 shown]
	; sched_barrier mask(0x00000000)
	scratch_load_b128 v[8:11], off, s33 offset:768
	s_clause 0x1
	flat_load_b128 v[4:7], v[52:53] offset:784
	flat_load_b128 v[0:3], v[52:53] offset:768
	s_clause 0x6
	scratch_load_b128 v[12:15], off, s33 offset:784
	scratch_load_b128 v[16:19], off, s33 offset:832
	;; [unrolled: 1-line block ×7, first 2 shown]
	s_wait_loadcnt_dscnt 0x700
	v_wmma_f32_16x16x16_fp8_fp8 v[0:7], v[98:99], v[8:9], v[0:7]
	s_delay_alu instid0(VALU_DEP_1) | instskip(SKIP_3) | instid1(VALU_DEP_1)
	v_wmma_f32_16x16x16_fp8_fp8 v[0:7], v[100:101], v[10:11], v[0:7]
	flat_load_b128 v[8:11], v[52:53] offset:800
	s_wait_loadcnt 0x7
	v_wmma_f32_16x16x16_fp8_fp8 v[0:7], v[112:113], v[12:13], v[0:7]
	v_wmma_f32_16x16x16_fp8_fp8 v[0:7], v[114:115], v[14:15], v[0:7]
	flat_load_b128 v[12:15], v[52:53] offset:816
	s_wait_loadcnt_dscnt 0x0
	v_wmma_f32_16x16x16_fp8_fp8 v[8:15], v[98:99], v[16:17], v[8:15]
	s_delay_alu instid0(VALU_DEP_1) | instskip(SKIP_2) | instid1(VALU_DEP_1)
	v_wmma_f32_16x16x16_fp8_fp8 v[8:15], v[100:101], v[18:19], v[8:15]
	flat_load_b128 v[16:19], v[52:53] offset:832
	v_wmma_f32_16x16x16_fp8_fp8 v[8:15], v[112:113], v[20:21], v[8:15]
	v_wmma_f32_16x16x16_fp8_fp8 v[8:15], v[114:115], v[22:23], v[8:15]
	flat_load_b128 v[20:23], v[52:53] offset:848
	s_wait_loadcnt_dscnt 0x0
	v_wmma_f32_16x16x16_fp8_fp8 v[16:23], v[98:99], v[24:25], v[16:23]
	s_delay_alu instid0(VALU_DEP_1) | instskip(SKIP_2) | instid1(VALU_DEP_1)
	v_wmma_f32_16x16x16_fp8_fp8 v[16:23], v[100:101], v[26:27], v[16:23]
	flat_load_b128 v[24:27], v[52:53] offset:864
	v_wmma_f32_16x16x16_fp8_fp8 v[16:23], v[112:113], v[28:29], v[16:23]
	v_wmma_f32_16x16x16_fp8_fp8 v[16:23], v[114:115], v[30:31], v[16:23]
	flat_load_b128 v[28:31], v[52:53] offset:880
	s_wait_loadcnt_dscnt 0x0
	v_wmma_f32_16x16x16_fp8_fp8 v[24:31], v[98:99], v[32:33], v[24:31]
	s_delay_alu instid0(VALU_DEP_1) | instskip(SKIP_2) | instid1(VALU_DEP_1)
	v_wmma_f32_16x16x16_fp8_fp8 v[24:31], v[100:101], v[34:35], v[24:31]
	scratch_load_b128 v[32:35], off, s33 offset:800
	v_wmma_f32_16x16x16_fp8_fp8 v[24:31], v[112:113], v[36:37], v[24:31]
	v_wmma_f32_16x16x16_fp8_fp8 v[24:31], v[114:115], v[38:39], v[24:31]
	scratch_load_b128 v[36:39], off, s33 offset:816
	s_wait_loadcnt 0x1
	v_wmma_f32_16x16x16_fp8_fp8 v[0:7], v[116:117], v[32:33], v[0:7]
	s_delay_alu instid0(VALU_DEP_1) | instskip(SKIP_1) | instid1(VALU_DEP_1)
	v_wmma_f32_16x16x16_fp8_fp8 v[0:7], v[118:119], v[34:35], v[0:7]
	s_wait_loadcnt 0x0
	v_wmma_f32_16x16x16_fp8_fp8 v[0:7], v[128:129], v[36:37], v[0:7]
	s_delay_alu instid0(VALU_DEP_1)
	v_wmma_f32_16x16x16_fp8_fp8 v[0:7], v[130:131], v[38:39], v[0:7]
	flat_store_b128 v[52:53], v[0:3] offset:768
	scratch_load_b128 v[0:3], off, s33 offset:864
	flat_store_b128 v[52:53], v[4:7] offset:784
	scratch_load_b128 v[4:7], off, s33 offset:880
	s_wait_loadcnt 0x1
	v_nop
	v_wmma_f32_16x16x16_fp8_fp8 v[8:15], v[116:117], v[0:1], v[8:15]
	s_delay_alu instid0(VALU_DEP_1) | instskip(SKIP_3) | instid1(VALU_DEP_1)
	v_wmma_f32_16x16x16_fp8_fp8 v[8:15], v[118:119], v[2:3], v[8:15]
	scratch_load_b128 v[0:3], off, s33 offset:928
	s_wait_loadcnt 0x1
	v_wmma_f32_16x16x16_fp8_fp8 v[8:15], v[128:129], v[4:5], v[8:15]
	v_wmma_f32_16x16x16_fp8_fp8 v[8:15], v[130:131], v[6:7], v[8:15]
	scratch_load_b128 v[4:7], off, s33 offset:944
	s_clause 0x1
	flat_store_b128 v[52:53], v[12:15] offset:816
	flat_store_b128 v[52:53], v[8:11] offset:800
	s_wait_loadcnt 0x1
	v_wmma_f32_16x16x16_fp8_fp8 v[16:23], v[116:117], v[0:1], v[16:23]
	s_delay_alu instid0(VALU_DEP_1) | instskip(SKIP_3) | instid1(VALU_DEP_1)
	v_wmma_f32_16x16x16_fp8_fp8 v[16:23], v[118:119], v[2:3], v[16:23]
	scratch_load_b128 v[0:3], off, s33 offset:992
	s_wait_loadcnt 0x1
	v_wmma_f32_16x16x16_fp8_fp8 v[16:23], v[128:129], v[4:5], v[16:23]
	v_wmma_f32_16x16x16_fp8_fp8 v[16:23], v[130:131], v[6:7], v[16:23]
	scratch_load_b128 v[4:7], off, s33 offset:1008
	s_clause 0x1
	flat_store_b128 v[52:53], v[20:23] offset:848
	flat_store_b128 v[52:53], v[16:19] offset:832
	s_wait_loadcnt 0x1
	v_wmma_f32_16x16x16_fp8_fp8 v[24:31], v[116:117], v[0:1], v[24:31]
	s_delay_alu instid0(VALU_DEP_1) | instskip(SKIP_1) | instid1(VALU_DEP_1)
	v_wmma_f32_16x16x16_fp8_fp8 v[24:31], v[118:119], v[2:3], v[24:31]
	s_wait_loadcnt 0x0
	v_wmma_f32_16x16x16_fp8_fp8 v[24:31], v[128:129], v[4:5], v[24:31]
	s_delay_alu instid0(VALU_DEP_1)
	v_wmma_f32_16x16x16_fp8_fp8 v[24:31], v[130:131], v[6:7], v[24:31]
	s_clause 0x1
	flat_store_b128 v[52:53], v[28:31] offset:880
	flat_store_b128 v[52:53], v[24:27] offset:864
	s_clause 0x3
	flat_load_b64 v[7:8], v[64:65] offset:1148
	flat_load_b64 v[9:10], v[64:65] offset:1164
	flat_load_b128 v[0:3], v[64:65] offset:1176
	flat_load_b96 v[4:6], v[64:65] offset:1132
	s_wait_loadcnt_dscnt 0x202
	v_sub_nc_u32_e32 v7, v7, v10
	s_wait_loadcnt_dscnt 0x101
	v_add_nc_u32_e32 v0, v9, v0
	s_wait_loadcnt_dscnt 0x0
	v_sub_nc_u32_e32 v2, v4, v2
	v_add3_u32 v1, v7, v1, 0xe0
	v_sub_nc_u32_e32 v7, v8, v9
	v_sub_nc_u32_e32 v8, v8, v0
	s_delay_alu instid0(VALU_DEP_3) | instskip(NEXT) | instid1(VALU_DEP_1)
	v_ashrrev_i32_e32 v10, 31, v1
	v_lshrrev_b32_e32 v10, 29, v10
	s_delay_alu instid0(VALU_DEP_1) | instskip(NEXT) | instid1(VALU_DEP_1)
	v_add_nc_u32_e32 v10, v1, v10
	v_and_b32_e32 v10, -8, v10
	s_delay_alu instid0(VALU_DEP_1) | instskip(SKIP_1) | instid1(VALU_DEP_2)
	v_sub_nc_u32_e32 v12, v1, v10
	v_sub_nc_u32_e32 v1, v1, v6
	v_xor_b32_e32 v7, v12, v7
	s_delay_alu instid0(VALU_DEP_2) | instskip(NEXT) | instid1(VALU_DEP_2)
	v_lshlrev_b32_e32 v1, 7, v1
	v_sub_nc_u32_e32 v6, v7, v5
	s_delay_alu instid0(VALU_DEP_2) | instskip(NEXT) | instid1(VALU_DEP_2)
	v_add_nc_u32_e32 v2, v2, v1
	v_lshlrev_b32_e32 v6, 4, v6
	s_delay_alu instid0(VALU_DEP_1)
	v_add3_u32 v10, v1, v4, v6
	flat_load_b64 v[6:7], v[54:55] offset:16
	v_ashrrev_i32_e32 v11, 31, v10
	s_wait_loadcnt_dscnt 0x0
	v_add_co_u32 v10, vcc_lo, v6, v10
	s_wait_alu 0xfffd
	s_delay_alu instid0(VALU_DEP_2) | instskip(SKIP_2) | instid1(VALU_DEP_1)
	v_add_co_ci_u32_e64 v11, null, v7, v11, vcc_lo
	flat_load_b128 v[98:101], v[10:11]
	v_add_nc_u32_e32 v10, 16, v3
	v_ashrrev_i32_e32 v11, 31, v10
	s_delay_alu instid0(VALU_DEP_1) | instskip(NEXT) | instid1(VALU_DEP_1)
	v_lshrrev_b32_e32 v11, 28, v11
	v_add_nc_u32_e32 v11, v10, v11
	s_delay_alu instid0(VALU_DEP_1) | instskip(SKIP_1) | instid1(VALU_DEP_2)
	v_lshrrev_b32_e32 v13, 4, v11
	v_and_b32_e32 v11, -16, v11
	v_add_nc_u32_e32 v0, v13, v8
	s_delay_alu instid0(VALU_DEP_2) | instskip(NEXT) | instid1(VALU_DEP_2)
	v_sub_nc_u32_e32 v10, v10, v11
	v_xor_b32_e32 v0, v0, v12
	s_delay_alu instid0(VALU_DEP_1) | instskip(NEXT) | instid1(VALU_DEP_1)
	v_sub_nc_u32_e32 v0, v0, v5
	v_lshlrev_b32_e32 v0, 4, v0
	s_delay_alu instid0(VALU_DEP_1) | instskip(NEXT) | instid1(VALU_DEP_1)
	v_add3_u32 v0, v10, v2, v0
	v_ashrrev_i32_e32 v1, 31, v0
	v_add_co_u32 v0, vcc_lo, v6, v0
	s_wait_alu 0xfffd
	s_delay_alu instid0(VALU_DEP_2) | instskip(SKIP_2) | instid1(VALU_DEP_1)
	v_add_co_ci_u32_e64 v1, null, v7, v1, vcc_lo
	flat_load_b128 v[112:115], v[0:1]
	v_add_nc_u32_e32 v0, 64, v3
	v_ashrrev_i32_e32 v1, 31, v0
	s_delay_alu instid0(VALU_DEP_1) | instskip(NEXT) | instid1(VALU_DEP_1)
	v_lshrrev_b32_e32 v1, 28, v1
	v_add_nc_u32_e32 v1, v0, v1
	s_delay_alu instid0(VALU_DEP_1) | instskip(SKIP_1) | instid1(VALU_DEP_1)
	v_lshrrev_b32_e32 v4, 4, v1
	v_and_b32_e32 v1, -16, v1
	v_sub_nc_u32_e32 v0, v0, v1
	s_delay_alu instid0(VALU_DEP_3) | instskip(NEXT) | instid1(VALU_DEP_1)
	v_add_nc_u32_e32 v1, v4, v8
	v_xor_b32_e32 v1, v1, v12
	s_delay_alu instid0(VALU_DEP_1) | instskip(NEXT) | instid1(VALU_DEP_1)
	v_sub_nc_u32_e32 v1, v1, v5
	v_lshlrev_b32_e32 v1, 4, v1
	s_delay_alu instid0(VALU_DEP_1) | instskip(NEXT) | instid1(VALU_DEP_1)
	v_add3_u32 v0, v0, v2, v1
	v_ashrrev_i32_e32 v1, 31, v0
	v_add_co_u32 v0, vcc_lo, v6, v0
	s_wait_alu 0xfffd
	s_delay_alu instid0(VALU_DEP_2) | instskip(SKIP_2) | instid1(VALU_DEP_1)
	v_add_co_ci_u32_e64 v1, null, v7, v1, vcc_lo
	flat_load_b128 v[116:119], v[0:1]
	v_add_nc_u32_e32 v0, 0x50, v3
	v_ashrrev_i32_e32 v1, 31, v0
	s_delay_alu instid0(VALU_DEP_1) | instskip(NEXT) | instid1(VALU_DEP_1)
	v_lshrrev_b32_e32 v1, 28, v1
	v_add_nc_u32_e32 v1, v0, v1
	s_delay_alu instid0(VALU_DEP_1) | instskip(SKIP_1) | instid1(VALU_DEP_1)
	v_lshrrev_b32_e32 v3, 4, v1
	v_and_b32_e32 v1, -16, v1
	v_sub_nc_u32_e32 v0, v0, v1
	s_delay_alu instid0(VALU_DEP_3) | instskip(SKIP_1) | instid1(VALU_DEP_2)
	v_add_nc_u32_e32 v1, v3, v8
	v_mov_b32_e32 v3, s7
	v_xor_b32_e32 v1, v1, v12
	s_delay_alu instid0(VALU_DEP_1) | instskip(NEXT) | instid1(VALU_DEP_1)
	v_sub_nc_u32_e32 v1, v1, v5
	v_lshlrev_b32_e32 v1, 4, v1
	s_delay_alu instid0(VALU_DEP_1) | instskip(SKIP_1) | instid1(VALU_DEP_2)
	v_add3_u32 v0, v0, v2, v1
	v_mov_b32_e32 v2, s6
	v_ashrrev_i32_e32 v1, 31, v0
	v_add_co_u32 v0, vcc_lo, v6, v0
	s_wait_alu 0xfffd
	s_delay_alu instid0(VALU_DEP_2)
	v_add_co_ci_u32_e64 v1, null, v7, v1, vcc_lo
	flat_load_b128 v[128:131], v[0:1]
	v_dual_mov_b32 v0, s5 :: v_dual_mov_b32 v1, s1
	s_wait_alu 0xfffe
	s_swappc_b64 s[30:31], s[2:3]
	; sched_group_barrier mask(0x00000008) size(8) SyncID(0)
	; sched_group_barrier mask(0x00000100) size(1) SyncID(0)
	;; [unrolled: 1-line block ×8, first 2 shown]
	; sched_barrier mask(0x00000000)
	scratch_load_b128 v[8:11], off, s33 offset:768
	s_clause 0x1
	flat_load_b128 v[4:7], v[52:53] offset:912
	flat_load_b128 v[0:3], v[52:53] offset:896
	s_clause 0x6
	scratch_load_b128 v[12:15], off, s33 offset:784
	scratch_load_b128 v[16:19], off, s33 offset:832
	;; [unrolled: 1-line block ×7, first 2 shown]
	s_add_co_i32 s0, s33, 0x200
	s_wait_loadcnt_dscnt 0x700
	v_wmma_f32_16x16x16_fp8_fp8 v[0:7], v[98:99], v[8:9], v[0:7]
	s_delay_alu instid0(VALU_DEP_1) | instskip(SKIP_3) | instid1(VALU_DEP_1)
	v_wmma_f32_16x16x16_fp8_fp8 v[0:7], v[100:101], v[10:11], v[0:7]
	flat_load_b128 v[8:11], v[52:53] offset:928
	s_wait_loadcnt 0x7
	v_wmma_f32_16x16x16_fp8_fp8 v[0:7], v[112:113], v[12:13], v[0:7]
	v_wmma_f32_16x16x16_fp8_fp8 v[0:7], v[114:115], v[14:15], v[0:7]
	flat_load_b128 v[12:15], v[52:53] offset:944
	s_wait_loadcnt_dscnt 0x0
	v_wmma_f32_16x16x16_fp8_fp8 v[8:15], v[98:99], v[16:17], v[8:15]
	s_delay_alu instid0(VALU_DEP_1) | instskip(SKIP_2) | instid1(VALU_DEP_1)
	v_wmma_f32_16x16x16_fp8_fp8 v[8:15], v[100:101], v[18:19], v[8:15]
	flat_load_b128 v[16:19], v[52:53] offset:960
	v_wmma_f32_16x16x16_fp8_fp8 v[8:15], v[112:113], v[20:21], v[8:15]
	v_wmma_f32_16x16x16_fp8_fp8 v[8:15], v[114:115], v[22:23], v[8:15]
	flat_load_b128 v[20:23], v[52:53] offset:976
	s_wait_loadcnt_dscnt 0x0
	v_wmma_f32_16x16x16_fp8_fp8 v[16:23], v[98:99], v[24:25], v[16:23]
	s_delay_alu instid0(VALU_DEP_1) | instskip(SKIP_2) | instid1(VALU_DEP_1)
	v_wmma_f32_16x16x16_fp8_fp8 v[16:23], v[100:101], v[26:27], v[16:23]
	flat_load_b128 v[24:27], v[52:53] offset:992
	v_wmma_f32_16x16x16_fp8_fp8 v[16:23], v[112:113], v[28:29], v[16:23]
	v_wmma_f32_16x16x16_fp8_fp8 v[16:23], v[114:115], v[30:31], v[16:23]
	flat_load_b128 v[28:31], v[52:53] offset:1008
	s_wait_loadcnt_dscnt 0x0
	v_wmma_f32_16x16x16_fp8_fp8 v[24:31], v[98:99], v[32:33], v[24:31]
	s_delay_alu instid0(VALU_DEP_1) | instskip(SKIP_2) | instid1(VALU_DEP_1)
	v_wmma_f32_16x16x16_fp8_fp8 v[24:31], v[100:101], v[34:35], v[24:31]
	scratch_load_b128 v[32:35], off, s33 offset:800
	v_wmma_f32_16x16x16_fp8_fp8 v[24:31], v[112:113], v[36:37], v[24:31]
	v_wmma_f32_16x16x16_fp8_fp8 v[24:31], v[114:115], v[38:39], v[24:31]
	scratch_load_b128 v[36:39], off, s33 offset:816
	s_wait_loadcnt 0x1
	v_wmma_f32_16x16x16_fp8_fp8 v[0:7], v[116:117], v[32:33], v[0:7]
	s_delay_alu instid0(VALU_DEP_1) | instskip(SKIP_1) | instid1(VALU_DEP_1)
	v_wmma_f32_16x16x16_fp8_fp8 v[0:7], v[118:119], v[34:35], v[0:7]
	s_wait_loadcnt 0x0
	v_wmma_f32_16x16x16_fp8_fp8 v[0:7], v[128:129], v[36:37], v[0:7]
	s_delay_alu instid0(VALU_DEP_1)
	v_wmma_f32_16x16x16_fp8_fp8 v[0:7], v[130:131], v[38:39], v[0:7]
	flat_store_b128 v[52:53], v[0:3] offset:896
	scratch_load_b128 v[0:3], off, s33 offset:864
	flat_store_b128 v[52:53], v[4:7] offset:912
	scratch_load_b128 v[4:7], off, s33 offset:880
	s_wait_loadcnt 0x1
	v_nop
	v_wmma_f32_16x16x16_fp8_fp8 v[8:15], v[116:117], v[0:1], v[8:15]
	s_delay_alu instid0(VALU_DEP_1) | instskip(SKIP_3) | instid1(VALU_DEP_1)
	v_wmma_f32_16x16x16_fp8_fp8 v[8:15], v[118:119], v[2:3], v[8:15]
	scratch_load_b128 v[0:3], off, s33 offset:928
	s_wait_loadcnt 0x1
	v_wmma_f32_16x16x16_fp8_fp8 v[8:15], v[128:129], v[4:5], v[8:15]
	v_wmma_f32_16x16x16_fp8_fp8 v[8:15], v[130:131], v[6:7], v[8:15]
	scratch_load_b128 v[4:7], off, s33 offset:944
	s_clause 0x1
	flat_store_b128 v[52:53], v[12:15] offset:944
	flat_store_b128 v[52:53], v[8:11] offset:928
	s_wait_loadcnt 0x1
	v_wmma_f32_16x16x16_fp8_fp8 v[16:23], v[116:117], v[0:1], v[16:23]
	s_delay_alu instid0(VALU_DEP_1) | instskip(SKIP_3) | instid1(VALU_DEP_1)
	v_wmma_f32_16x16x16_fp8_fp8 v[16:23], v[118:119], v[2:3], v[16:23]
	scratch_load_b128 v[0:3], off, s33 offset:992
	s_wait_loadcnt 0x1
	v_wmma_f32_16x16x16_fp8_fp8 v[16:23], v[128:129], v[4:5], v[16:23]
	v_wmma_f32_16x16x16_fp8_fp8 v[16:23], v[130:131], v[6:7], v[16:23]
	scratch_load_b128 v[4:7], off, s33 offset:1008
	s_clause 0x1
	flat_store_b128 v[52:53], v[20:23] offset:976
	flat_store_b128 v[52:53], v[16:19] offset:960
	s_wait_loadcnt 0x1
	v_wmma_f32_16x16x16_fp8_fp8 v[24:31], v[116:117], v[0:1], v[24:31]
	s_delay_alu instid0(VALU_DEP_1) | instskip(SKIP_1) | instid1(VALU_DEP_1)
	v_wmma_f32_16x16x16_fp8_fp8 v[24:31], v[118:119], v[2:3], v[24:31]
	s_wait_loadcnt 0x0
	v_wmma_f32_16x16x16_fp8_fp8 v[24:31], v[128:129], v[4:5], v[24:31]
	s_delay_alu instid0(VALU_DEP_1)
	v_wmma_f32_16x16x16_fp8_fp8 v[24:31], v[130:131], v[6:7], v[24:31]
	s_clause 0x1
	flat_store_b128 v[52:53], v[28:31] offset:1008
	flat_store_b128 v[52:53], v[24:27] offset:992
	s_wait_dscnt 0x0
	s_barrier_signal -1
	s_barrier_wait -1
	flat_load_b96 v[0:2], v[64:65] offset:1132
	flat_load_b64 v[3:4], v[54:55]
	s_clause 0x1
	flat_load_b64 v[7:8], v[64:65] offset:1184
	flat_load_b32 v9, v[64:65] offset:1176
	s_wait_loadcnt_dscnt 0x303
	v_ashrrev_i32_e32 v6, 31, v0
	s_wait_loadcnt_dscnt 0x202
	v_add_co_u32 v5, vcc_lo, v3, v0
	s_wait_loadcnt_dscnt 0x101
	v_add_nc_u32_e32 v10, 16, v8
	s_wait_alu 0xfffd
	v_add_co_ci_u32_e64 v6, null, v4, v6, vcc_lo
	s_delay_alu instid0(VALU_DEP_2) | instskip(SKIP_3) | instid1(VALU_DEP_1)
	v_ashrrev_i32_e32 v11, 31, v10
	flat_load_b128 v[116:119], v[5:6]
	flat_load_b64 v[5:6], v[64:65] offset:1148
	v_lshrrev_b32_e32 v11, 28, v11
	v_add_nc_u32_e32 v11, v10, v11
	s_delay_alu instid0(VALU_DEP_1) | instskip(SKIP_1) | instid1(VALU_DEP_1)
	v_lshrrev_b32_e32 v12, 4, v11
	v_and_b32_e32 v11, -16, v11
	v_sub_nc_u32_e32 v10, v10, v11
	s_wait_loadcnt_dscnt 0x0
	v_ashrrev_i32_e32 v11, 31, v5
	v_sub_nc_u32_e32 v9, v6, v9
	v_sub_nc_u32_e32 v2, v5, v2
	s_delay_alu instid0(VALU_DEP_3) | instskip(NEXT) | instid1(VALU_DEP_3)
	v_lshrrev_b32_e32 v11, 29, v11
	v_add_nc_u32_e32 v6, v12, v9
	s_delay_alu instid0(VALU_DEP_3) | instskip(NEXT) | instid1(VALU_DEP_3)
	v_lshl_add_u32 v0, v2, 7, v0
	v_add_nc_u32_e32 v11, v5, v11
	s_delay_alu instid0(VALU_DEP_2) | instskip(NEXT) | instid1(VALU_DEP_2)
	v_sub_nc_u32_e32 v0, v0, v7
	v_and_b32_e32 v11, -8, v11
	s_delay_alu instid0(VALU_DEP_1) | instskip(NEXT) | instid1(VALU_DEP_1)
	v_sub_nc_u32_e32 v11, v5, v11
	v_xor_b32_e32 v6, v6, v11
	s_delay_alu instid0(VALU_DEP_1) | instskip(NEXT) | instid1(VALU_DEP_1)
	v_sub_nc_u32_e32 v5, v6, v1
	v_lshlrev_b32_e32 v5, 4, v5
	s_delay_alu instid0(VALU_DEP_1) | instskip(NEXT) | instid1(VALU_DEP_1)
	v_add3_u32 v2, v10, v0, v5
	v_ashrrev_i32_e32 v6, 31, v2
	v_add_co_u32 v5, vcc_lo, v3, v2
	v_add_nc_u32_e32 v2, 64, v8
	s_wait_alu 0xfffd
	s_delay_alu instid0(VALU_DEP_3) | instskip(SKIP_2) | instid1(VALU_DEP_1)
	v_add_co_ci_u32_e64 v6, null, v4, v6, vcc_lo
	flat_load_b128 v[128:131], v[5:6]
	v_ashrrev_i32_e32 v5, 31, v2
	v_lshrrev_b32_e32 v5, 28, v5
	s_delay_alu instid0(VALU_DEP_1) | instskip(NEXT) | instid1(VALU_DEP_1)
	v_add_nc_u32_e32 v5, v2, v5
	v_lshrrev_b32_e32 v6, 4, v5
	v_and_b32_e32 v5, -16, v5
	s_delay_alu instid0(VALU_DEP_1) | instskip(NEXT) | instid1(VALU_DEP_3)
	v_sub_nc_u32_e32 v2, v2, v5
	v_add_nc_u32_e32 v5, v6, v9
	s_delay_alu instid0(VALU_DEP_1) | instskip(NEXT) | instid1(VALU_DEP_1)
	v_xor_b32_e32 v5, v5, v11
	v_sub_nc_u32_e32 v5, v5, v1
	s_delay_alu instid0(VALU_DEP_1) | instskip(NEXT) | instid1(VALU_DEP_1)
	v_lshlrev_b32_e32 v5, 4, v5
	v_add3_u32 v2, v2, v0, v5
	s_delay_alu instid0(VALU_DEP_1) | instskip(SKIP_3) | instid1(VALU_DEP_3)
	v_ashrrev_i32_e32 v6, 31, v2
	v_add_co_u32 v5, vcc_lo, v3, v2
	v_add_nc_u32_e32 v2, 0x50, v8
	s_wait_alu 0xfffd
	v_add_co_ci_u32_e64 v6, null, v4, v6, vcc_lo
	flat_load_b128 v[98:101], v[5:6]
	v_ashrrev_i32_e32 v5, 31, v2
	s_delay_alu instid0(VALU_DEP_1) | instskip(NEXT) | instid1(VALU_DEP_1)
	v_lshrrev_b32_e32 v5, 28, v5
	v_add_nc_u32_e32 v5, v2, v5
	s_delay_alu instid0(VALU_DEP_1) | instskip(SKIP_1) | instid1(VALU_DEP_1)
	v_lshrrev_b32_e32 v6, 4, v5
	v_and_b32_e32 v5, -16, v5
	v_sub_nc_u32_e32 v2, v2, v5
	s_delay_alu instid0(VALU_DEP_3) | instskip(NEXT) | instid1(VALU_DEP_1)
	v_add_nc_u32_e32 v5, v6, v9
	v_xor_b32_e32 v5, v5, v11
	s_delay_alu instid0(VALU_DEP_1) | instskip(NEXT) | instid1(VALU_DEP_1)
	v_sub_nc_u32_e32 v1, v5, v1
	v_lshlrev_b32_e32 v1, 4, v1
	s_delay_alu instid0(VALU_DEP_1) | instskip(SKIP_2) | instid1(VALU_DEP_2)
	v_add3_u32 v0, v2, v0, v1
	s_wait_alu 0xfffe
	v_mov_b32_e32 v2, s0
	v_ashrrev_i32_e32 v1, 31, v0
	v_add_co_u32 v0, vcc_lo, v3, v0
	v_mov_b32_e32 v3, s1
	s_wait_alu 0xfffd
	s_delay_alu instid0(VALU_DEP_3)
	v_add_co_ci_u32_e64 v1, null, v4, v1, vcc_lo
	flat_load_b128 v[112:115], v[0:1]
	v_dual_mov_b32 v0, s33 :: v_dual_mov_b32 v1, s1
	s_swappc_b64 s[30:31], s[2:3]
	; sched_group_barrier mask(0x00000008) size(8) SyncID(0)
	; sched_group_barrier mask(0x00000100) size(1) SyncID(0)
	;; [unrolled: 1-line block ×8, first 2 shown]
	; sched_barrier mask(0x00000000)
	s_add_co_i32 s12, s12, 2
	s_wait_alu 0xfffe
	v_cmp_ge_i32_e32 vcc_lo, s12, v134
	s_or_b32 s4, vcc_lo, s4
	s_wait_alu 0xfffe
	s_and_not1_b32 exec_lo, exec_lo, s4
	s_cbranch_execz .LBB6_144
.LBB6_64:                               ; =>This Loop Header: Depth=1
                                        ;     Child Loop BB6_65 Depth 2
                                        ;     Child Loop BB6_67 Depth 2
	;; [unrolled: 1-line block ×32, first 2 shown]
	flat_load_b128 v[0:3], v[70:71]
	s_clause 0x1
	flat_load_b128 v[4:7], v[68:69]
	flat_load_b64 v[12:13], v[68:69]
	s_mov_b32 s2, exec_lo
	s_wait_loadcnt_dscnt 0x202
	v_lshrrev_b32_e32 v8, 31, v0
	s_wait_loadcnt_dscnt 0x101
	v_lshrrev_b32_e32 v9, 31, v7
	s_wait_loadcnt_dscnt 0x0
	v_and_b32_e32 v13, 0xffff, v13
	v_add_nc_u32_e32 v8, v0, v8
	s_delay_alu instid0(VALU_DEP_3) | instskip(SKIP_2) | instid1(VALU_DEP_3)
	v_add_co_u32 v6, vcc_lo, v6, v9
	s_wait_alu 0xfffd
	v_add_co_ci_u32_e64 v7, null, 0, v7, vcc_lo
	v_ashrrev_i32_e32 v10, 1, v8
	s_delay_alu instid0(VALU_DEP_2)
	v_alignbit_b32 v132, v7, v6, 1
.LBB6_65:                               ;   Parent Loop BB6_64 Depth=1
                                        ; =>  This Inner Loop Header: Depth=2
	v_readfirstlane_b32 s8, v12
	v_readfirstlane_b32 s9, v13
	s_delay_alu instid0(VALU_DEP_3) | instskip(SKIP_2) | instid1(VALU_DEP_3)
	v_readfirstlane_b32 s10, v132
	v_readfirstlane_b32 s11, v133
	s_wait_alu 0xf1ff
	v_cmp_eq_u64_e32 vcc_lo, s[8:9], v[12:13]
	s_delay_alu instid0(VALU_DEP_2)
	v_cmp_eq_u64_e64 s0, s[10:11], v[132:133]
	s_and_b32 s0, vcc_lo, s0
	s_wait_alu 0xfffe
	s_and_saveexec_b32 s0, s0
	s_wait_loadcnt 0x0
	buffer_load_b128 v[6:9], v10, s[8:11], null offen
                                        ; implicit-def: $vgpr10
	s_xor_b32 exec_lo, exec_lo, s0
	s_cbranch_execnz .LBB6_65
; %bb.66:                               ;   in Loop: Header=BB6_64 Depth=1
	s_mov_b32 exec_lo, s2
	v_add_nc_u32_e32 v14, 1, v1
	s_mov_b32 s2, exec_lo
	s_wait_loadcnt 0x0
	scratch_store_b128 off, v[6:9], s33 offset:256
	flat_store_b32 v[70:71], v14 offset:4
	flat_load_b32 v10, v[80:81] offset:16
	s_wait_loadcnt_dscnt 0x0
	v_add_nc_u32_e32 v10, v10, v0
	s_delay_alu instid0(VALU_DEP_1) | instskip(SKIP_2) | instid1(VALU_DEP_1)
	v_lshrrev_b32_e32 v0, 31, v10
	flat_store_b32 v[70:71], v10
	v_add_nc_u32_e32 v0, v10, v0
	v_ashrrev_i32_e32 v0, 1, v0
.LBB6_67:                               ;   Parent Loop BB6_64 Depth=1
                                        ; =>  This Inner Loop Header: Depth=2
	v_readfirstlane_b32 s8, v12
	v_readfirstlane_b32 s9, v13
	;; [unrolled: 1-line block ×4, first 2 shown]
	s_wait_alu 0xf1ff
	s_delay_alu instid0(VALU_DEP_3) | instskip(NEXT) | instid1(VALU_DEP_2)
	v_cmp_eq_u64_e32 vcc_lo, s[8:9], v[12:13]
	v_cmp_eq_u64_e64 s0, s[10:11], v[132:133]
	s_and_b32 s0, vcc_lo, s0
	s_wait_alu 0xfffe
	s_and_saveexec_b32 s0, s0
	s_wait_loadcnt 0x0
	buffer_load_b128 v[6:9], v0, s[8:11], null offen
                                        ; implicit-def: $vgpr0
	s_xor_b32 exec_lo, exec_lo, s0
	s_cbranch_execnz .LBB6_67
; %bb.68:                               ;   in Loop: Header=BB6_64 Depth=1
	s_mov_b32 exec_lo, s2
	v_add_nc_u32_e32 v0, 2, v1
	s_mov_b32 s2, exec_lo
	s_wait_loadcnt 0x0
	scratch_store_b128 off, v[6:9], s33 offset:320
	flat_store_b32 v[70:71], v0 offset:4
	flat_load_b32 v11, v[80:81] offset:16
	s_wait_loadcnt_dscnt 0x0
	v_add_nc_u32_e32 v10, v11, v10
	s_delay_alu instid0(VALU_DEP_1) | instskip(SKIP_2) | instid1(VALU_DEP_1)
	v_lshrrev_b32_e32 v11, 31, v10
	flat_store_b32 v[70:71], v10
	v_add_nc_u32_e32 v11, v10, v11
	v_ashrrev_i32_e32 v11, 1, v11
.LBB6_69:                               ;   Parent Loop BB6_64 Depth=1
                                        ; =>  This Inner Loop Header: Depth=2
	v_readfirstlane_b32 s8, v12
	v_readfirstlane_b32 s9, v13
	v_readfirstlane_b32 s10, v132
	v_readfirstlane_b32 s11, v133
	s_wait_alu 0xf1ff
	s_delay_alu instid0(VALU_DEP_3) | instskip(NEXT) | instid1(VALU_DEP_2)
	v_cmp_eq_u64_e32 vcc_lo, s[8:9], v[12:13]
	v_cmp_eq_u64_e64 s0, s[10:11], v[132:133]
	s_and_b32 s0, vcc_lo, s0
	s_wait_alu 0xfffe
	s_and_saveexec_b32 s0, s0
	s_wait_loadcnt 0x0
	buffer_load_b128 v[6:9], v11, s[8:11], null offen
                                        ; implicit-def: $vgpr11
	s_xor_b32 exec_lo, exec_lo, s0
	s_cbranch_execnz .LBB6_69
; %bb.70:                               ;   in Loop: Header=BB6_64 Depth=1
	s_mov_b32 exec_lo, s2
	v_add_nc_u32_e32 v11, 3, v1
	s_mov_b32 s2, exec_lo
	s_wait_loadcnt 0x0
	scratch_store_b128 off, v[6:9], s33 offset:384
	flat_store_b32 v[70:71], v11 offset:4
	flat_load_b32 v11, v[80:81] offset:16
	s_wait_loadcnt_dscnt 0x0
	v_add_nc_u32_e32 v10, v11, v10
	s_delay_alu instid0(VALU_DEP_1) | instskip(SKIP_2) | instid1(VALU_DEP_1)
	v_lshrrev_b32_e32 v11, 31, v10
	flat_store_b32 v[70:71], v10
	v_add_nc_u32_e32 v11, v10, v11
	v_ashrrev_i32_e32 v11, 1, v11
.LBB6_71:                               ;   Parent Loop BB6_64 Depth=1
                                        ; =>  This Inner Loop Header: Depth=2
	v_readfirstlane_b32 s8, v12
	v_readfirstlane_b32 s9, v13
	v_readfirstlane_b32 s10, v132
	v_readfirstlane_b32 s11, v133
	s_wait_alu 0xf1ff
	s_delay_alu instid0(VALU_DEP_3) | instskip(NEXT) | instid1(VALU_DEP_2)
	v_cmp_eq_u64_e32 vcc_lo, s[8:9], v[12:13]
	v_cmp_eq_u64_e64 s0, s[10:11], v[132:133]
	s_and_b32 s0, vcc_lo, s0
	s_wait_alu 0xfffe
	s_and_saveexec_b32 s0, s0
	s_wait_loadcnt 0x0
	buffer_load_b128 v[6:9], v11, s[8:11], null offen
                                        ; implicit-def: $vgpr11
	s_xor_b32 exec_lo, exec_lo, s0
	s_cbranch_execnz .LBB6_71
	;; [unrolled: 33-line block ×3, first 2 shown]
; %bb.74:                               ;   in Loop: Header=BB6_64 Depth=1
	s_mov_b32 exec_lo, s2
	flat_store_b32 v[70:71], v0 offset:4
	flat_load_b32 v0, v[80:81] offset:16
	s_mov_b32 s2, exec_lo
	s_wait_loadcnt 0x1
	scratch_store_b128 off, v[6:9], s33 offset:480
	s_wait_loadcnt_dscnt 0x0
	v_sub_nc_u32_e32 v0, v10, v0
	s_delay_alu instid0(VALU_DEP_1) | instskip(SKIP_2) | instid1(VALU_DEP_1)
	v_lshrrev_b32_e32 v10, 31, v0
	flat_store_b32 v[70:71], v0
	v_add_nc_u32_e32 v10, v0, v10
	v_ashrrev_i32_e32 v15, 1, v10
.LBB6_75:                               ;   Parent Loop BB6_64 Depth=1
                                        ; =>  This Inner Loop Header: Depth=2
	v_readfirstlane_b32 s8, v12
	v_readfirstlane_b32 s9, v13
	;; [unrolled: 1-line block ×4, first 2 shown]
	s_wait_alu 0xf1ff
	s_delay_alu instid0(VALU_DEP_3) | instskip(NEXT) | instid1(VALU_DEP_2)
	v_cmp_eq_u64_e32 vcc_lo, s[8:9], v[12:13]
	v_cmp_eq_u64_e64 s0, s[10:11], v[132:133]
	s_and_b32 s0, vcc_lo, s0
	s_wait_alu 0xfffe
	s_and_saveexec_b32 s0, s0
	s_wait_loadcnt 0x0
	buffer_load_b128 v[8:11], v15, s[8:11], null offen
                                        ; implicit-def: $vgpr15
                                        ; implicit-def: $vgpr12_vgpr13
	s_xor_b32 exec_lo, exec_lo, s0
	s_cbranch_execnz .LBB6_75
; %bb.76:                               ;   in Loop: Header=BB6_64 Depth=1
	s_mov_b32 exec_lo, s2
	flat_store_b32 v[70:71], v14 offset:4
	flat_load_b32 v12, v[80:81] offset:16
	flat_load_b64 v[6:7], v[68:69] offset:8
	v_and_b32_e32 v5, 0xffff, v5
	s_mov_b32 s2, exec_lo
	s_wait_loadcnt 0x2
	scratch_store_b128 off, v[8:11], s33 offset:416
	s_wait_loadcnt_dscnt 0x101
	v_sub_nc_u32_e32 v0, v0, v12
	s_wait_loadcnt_dscnt 0x0
	v_lshrrev_b32_e32 v12, 31, v7
	s_delay_alu instid0(VALU_DEP_2) | instskip(NEXT) | instid1(VALU_DEP_2)
	v_lshrrev_b32_e32 v13, 31, v0
	v_add_co_u32 v6, vcc_lo, v6, v12
	s_wait_alu 0xfffd
	v_add_co_ci_u32_e64 v7, null, 0, v7, vcc_lo
	s_delay_alu instid0(VALU_DEP_3)
	v_add_nc_u32_e32 v12, v0, v13
	flat_store_b32 v[70:71], v0
	v_alignbit_b32 v6, v7, v6, 1
	v_mov_b32_e32 v7, v133
	v_ashrrev_i32_e32 v12, 1, v12
.LBB6_77:                               ;   Parent Loop BB6_64 Depth=1
                                        ; =>  This Inner Loop Header: Depth=2
	v_readfirstlane_b32 s8, v4
	v_readfirstlane_b32 s9, v5
	v_readfirstlane_b32 s10, v6
	v_readfirstlane_b32 s11, v7
	s_wait_alu 0xf1ff
	s_delay_alu instid0(VALU_DEP_3) | instskip(NEXT) | instid1(VALU_DEP_2)
	v_cmp_eq_u64_e32 vcc_lo, s[8:9], v[4:5]
	v_cmp_eq_u64_e64 s0, s[10:11], v[6:7]
	s_and_b32 s0, vcc_lo, s0
	s_wait_alu 0xfffe
	s_and_saveexec_b32 s0, s0
	s_wait_loadcnt 0x0
	buffer_load_b128 v[8:11], v12, s[8:11], null offen
                                        ; implicit-def: $vgpr12
	s_xor_b32 exec_lo, exec_lo, s0
	s_cbranch_execnz .LBB6_77
; %bb.78:                               ;   in Loop: Header=BB6_64 Depth=1
	s_mov_b32 exec_lo, s2
	flat_store_b32 v[70:71], v1 offset:4
	flat_load_b32 v12, v[80:81] offset:16
	s_mov_b32 s2, exec_lo
	s_wait_loadcnt 0x1
	scratch_store_b128 off, v[8:11], s33 offset:352
	s_wait_loadcnt_dscnt 0x0
	v_sub_nc_u32_e32 v0, v0, v12
	s_delay_alu instid0(VALU_DEP_1) | instskip(SKIP_2) | instid1(VALU_DEP_1)
	v_lshrrev_b32_e32 v12, 31, v0
	flat_store_b32 v[70:71], v0
	v_add_nc_u32_e32 v12, v0, v12
	v_ashrrev_i32_e32 v12, 1, v12
.LBB6_79:                               ;   Parent Loop BB6_64 Depth=1
                                        ; =>  This Inner Loop Header: Depth=2
	v_readfirstlane_b32 s8, v4
	v_readfirstlane_b32 s9, v5
	;; [unrolled: 1-line block ×4, first 2 shown]
	s_wait_alu 0xf1ff
	s_delay_alu instid0(VALU_DEP_3) | instskip(NEXT) | instid1(VALU_DEP_2)
	v_cmp_eq_u64_e32 vcc_lo, s[8:9], v[4:5]
	v_cmp_eq_u64_e64 s0, s[10:11], v[6:7]
	s_and_b32 s0, vcc_lo, s0
	s_wait_alu 0xfffe
	s_and_saveexec_b32 s0, s0
	s_wait_loadcnt 0x0
	buffer_load_b128 v[8:11], v12, s[8:11], null offen
                                        ; implicit-def: $vgpr4_vgpr5_vgpr6_vgpr7
                                        ; implicit-def: $vgpr12
	s_xor_b32 exec_lo, exec_lo, s0
	s_cbranch_execnz .LBB6_79
; %bb.80:                               ;   in Loop: Header=BB6_64 Depth=1
	s_mov_b32 exec_lo, s2
	flat_store_b32 v[70:71], v3 offset:12
	flat_load_b32 v4, v[80:81] offset:24
	s_mov_b32 s0, exec_lo
	s_wait_loadcnt_dscnt 0x0
	v_sub_nc_u32_e32 v0, v0, v4
	flat_store_b32 v[70:71], v0
	flat_load_b128 v[4:7], v[66:67]
	flat_load_b32 v15, v[70:71] offset:16
	s_wait_loadcnt_dscnt 0x101
	v_or_b32_e32 v12, v5, v4
	v_add_nc_u32_e32 v13, v2, v5
	v_add_nc_u32_e32 v14, v6, v3
	s_wait_loadcnt_dscnt 0x0
	v_add_nc_u32_e32 v15, v15, v7
	v_or3_b32 v16, v12, v6, v7
	v_add_nc_u32_e32 v12, v4, v1
	scratch_store_b128 off, v[8:11], s33 offset:288
	flat_store_b128 v[70:71], v[12:15] offset:4
	v_cmpx_ne_u32_e32 0, v16
	s_cbranch_execz .LBB6_82
; %bb.81:                               ;   in Loop: Header=BB6_64 Depth=1
	flat_load_b96 v[1:3], v[80:81] offset:16
	s_wait_loadcnt_dscnt 0x0
	v_mul_lo_u32 v1, v1, v4
	v_mul_lo_u32 v2, v2, v5
	;; [unrolled: 1-line block ×3, first 2 shown]
	s_delay_alu instid0(VALU_DEP_3) | instskip(NEXT) | instid1(VALU_DEP_1)
	v_add3_u32 v0, v7, v0, v1
	v_add3_u32 v0, v0, v2, v3
	flat_store_b32 v[70:71], v0
.LBB6_82:                               ;   in Loop: Header=BB6_64 Depth=1
	s_wait_alu 0xfffe
	s_or_b32 exec_lo, exec_lo, s0
	scratch_load_b128 v[6:9], off, s33 offset:512
	flat_load_b128 v[0:3], v[52:53]
	s_clause 0x6
	scratch_load_b128 v[10:13], off, s33 offset:528
	scratch_load_b128 v[16:19], off, s33 offset:576
	;; [unrolled: 1-line block ×7, first 2 shown]
	s_getpc_b64 s[2:3]
	s_wait_alu 0xfffe
	s_sext_i32_i16 s3, s3
	s_add_co_u32 s2, s2, _ZNK2ck44ThreadwiseTensorSliceTransfer_StaticToStaticINS_7pk_i4_tENS_9f8_fnuz_tEKNS_16TensorDescriptorINS_5TupleIJNS_7UnMergeINS4_IJNS_17integral_constantIiLi4EEENS6_IiLi1EEENS6_IiLi2EEENS6_IiLi32EEEEEELb0EEEEEENS4_IJNS_8SequenceIJLi0EEEEEEENS4_IJNSE_IJLi1ELi2ELi3ELi4EEEEEEESH_NS6_IlLl256EEEEESL_NS_16tensor_operation12element_wise11PassThroughENSE_IJLi4ELi1ELi2ELi32EEEENSE_IJLi1ELi2ELi0ELi3EEEELi3ELi32ELb0EE3RunINS4_IJNS6_IiLi0EEEST_ST_ST_EEESU_NS_12StaticBufferILNS_16AddressSpaceEnumE4ES1_Li256ELb1EEENSV_ILSW_4ES2_Li256ELb1EEEEEvRSL_RKT_RKT1_SZ_RKT0_RT2_@rel32@lo+12
	s_wait_alu 0xfffe
	s_add_co_ci_u32 s3, s3, _ZNK2ck44ThreadwiseTensorSliceTransfer_StaticToStaticINS_7pk_i4_tENS_9f8_fnuz_tEKNS_16TensorDescriptorINS_5TupleIJNS_7UnMergeINS4_IJNS_17integral_constantIiLi4EEENS6_IiLi1EEENS6_IiLi2EEENS6_IiLi32EEEEEELb0EEEEEENS4_IJNS_8SequenceIJLi0EEEEEEENS4_IJNSE_IJLi1ELi2ELi3ELi4EEEEEEESH_NS6_IlLl256EEEEESL_NS_16tensor_operation12element_wise11PassThroughENSE_IJLi4ELi1ELi2ELi32EEEENSE_IJLi1ELi2ELi0ELi3EEEELi3ELi32ELb0EE3RunINS4_IJNS6_IiLi0EEEST_ST_ST_EEESU_NS_12StaticBufferILNS_16AddressSpaceEnumE4ES1_Li256ELb1EEENSV_ILSW_4ES2_Li256ELb1EEEEEvRSL_RKT_RKT1_SZ_RKT0_RT2_@rel32@hi+24
	s_add_co_i32 s0, s33, 0x200
	s_wait_loadcnt 0x8
	v_perm_b32 v15, v7, v7, 0x3020104
	v_perm_b32 v14, v6, v6, 0x3020504
	flat_load_b128 v[4:7], v[52:53] offset:16
	s_wait_loadcnt_dscnt 0x0
	v_wmma_f32_16x16x16_fp8_fp8 v[0:7], v[116:117], v[14:15], v[0:7]
	s_delay_alu instid0(VALU_DEP_1) | instskip(NEXT) | instid1(VALU_DEP_1)
	v_wmma_f32_16x16x16_fp8_fp8 v[0:7], v[118:119], v[8:9], v[0:7]
	v_wmma_f32_16x16x16_fp8_fp8 v[0:7], v[128:129], v[10:11], v[0:7]
	flat_load_b128 v[8:11], v[52:53] offset:32
	v_wmma_f32_16x16x16_fp8_fp8 v[0:7], v[130:131], v[12:13], v[0:7]
	flat_load_b128 v[12:15], v[52:53] offset:48
	s_wait_loadcnt_dscnt 0x0
	v_wmma_f32_16x16x16_fp8_fp8 v[8:15], v[116:117], v[16:17], v[8:15]
	s_delay_alu instid0(VALU_DEP_1) | instskip(SKIP_2) | instid1(VALU_DEP_1)
	v_wmma_f32_16x16x16_fp8_fp8 v[8:15], v[118:119], v[18:19], v[8:15]
	flat_load_b128 v[16:19], v[52:53] offset:64
	v_wmma_f32_16x16x16_fp8_fp8 v[8:15], v[128:129], v[20:21], v[8:15]
	v_wmma_f32_16x16x16_fp8_fp8 v[8:15], v[130:131], v[22:23], v[8:15]
	flat_load_b128 v[20:23], v[52:53] offset:80
	s_wait_loadcnt_dscnt 0x0
	v_wmma_f32_16x16x16_fp8_fp8 v[16:23], v[116:117], v[24:25], v[16:23]
	s_delay_alu instid0(VALU_DEP_1) | instskip(SKIP_2) | instid1(VALU_DEP_1)
	v_wmma_f32_16x16x16_fp8_fp8 v[16:23], v[118:119], v[26:27], v[16:23]
	flat_load_b128 v[24:27], v[52:53] offset:96
	v_wmma_f32_16x16x16_fp8_fp8 v[16:23], v[128:129], v[28:29], v[16:23]
	v_wmma_f32_16x16x16_fp8_fp8 v[16:23], v[130:131], v[30:31], v[16:23]
	flat_load_b128 v[28:31], v[52:53] offset:112
	s_wait_loadcnt_dscnt 0x0
	v_wmma_f32_16x16x16_fp8_fp8 v[24:31], v[116:117], v[32:33], v[24:31]
	s_delay_alu instid0(VALU_DEP_1) | instskip(SKIP_2) | instid1(VALU_DEP_1)
	v_wmma_f32_16x16x16_fp8_fp8 v[24:31], v[118:119], v[34:35], v[24:31]
	scratch_load_b128 v[32:35], off, s33 offset:544
	v_wmma_f32_16x16x16_fp8_fp8 v[24:31], v[128:129], v[36:37], v[24:31]
	v_wmma_f32_16x16x16_fp8_fp8 v[24:31], v[130:131], v[38:39], v[24:31]
	scratch_load_b128 v[36:39], off, s33 offset:560
	s_wait_loadcnt 0x1
	v_wmma_f32_16x16x16_fp8_fp8 v[0:7], v[98:99], v[32:33], v[0:7]
	s_delay_alu instid0(VALU_DEP_1) | instskip(SKIP_1) | instid1(VALU_DEP_1)
	v_wmma_f32_16x16x16_fp8_fp8 v[0:7], v[100:101], v[34:35], v[0:7]
	s_wait_loadcnt 0x0
	v_wmma_f32_16x16x16_fp8_fp8 v[0:7], v[112:113], v[36:37], v[0:7]
	s_delay_alu instid0(VALU_DEP_1)
	v_wmma_f32_16x16x16_fp8_fp8 v[0:7], v[114:115], v[38:39], v[0:7]
	flat_store_b128 v[52:53], v[0:3]
	scratch_load_b128 v[0:3], off, s33 offset:608
	flat_store_b128 v[52:53], v[4:7] offset:16
	scratch_load_b128 v[4:7], off, s33 offset:624
	s_wait_loadcnt 0x1
	v_nop
	v_wmma_f32_16x16x16_fp8_fp8 v[8:15], v[98:99], v[0:1], v[8:15]
	s_delay_alu instid0(VALU_DEP_1) | instskip(SKIP_3) | instid1(VALU_DEP_1)
	v_wmma_f32_16x16x16_fp8_fp8 v[8:15], v[100:101], v[2:3], v[8:15]
	scratch_load_b128 v[0:3], off, s33 offset:672
	s_wait_loadcnt 0x1
	v_wmma_f32_16x16x16_fp8_fp8 v[8:15], v[112:113], v[4:5], v[8:15]
	v_wmma_f32_16x16x16_fp8_fp8 v[8:15], v[114:115], v[6:7], v[8:15]
	scratch_load_b128 v[4:7], off, s33 offset:688
	s_clause 0x1
	flat_store_b128 v[52:53], v[8:11] offset:32
	flat_store_b128 v[52:53], v[12:15] offset:48
	s_wait_loadcnt 0x1
	v_wmma_f32_16x16x16_fp8_fp8 v[16:23], v[98:99], v[0:1], v[16:23]
	s_delay_alu instid0(VALU_DEP_1) | instskip(SKIP_3) | instid1(VALU_DEP_1)
	v_wmma_f32_16x16x16_fp8_fp8 v[16:23], v[100:101], v[2:3], v[16:23]
	scratch_load_b128 v[0:3], off, s33 offset:736
	s_wait_loadcnt 0x1
	v_wmma_f32_16x16x16_fp8_fp8 v[16:23], v[112:113], v[4:5], v[16:23]
	v_wmma_f32_16x16x16_fp8_fp8 v[16:23], v[114:115], v[6:7], v[16:23]
	scratch_load_b128 v[4:7], off, s33 offset:752
	s_clause 0x1
	flat_store_b128 v[52:53], v[20:23] offset:80
	flat_store_b128 v[52:53], v[16:19] offset:64
	s_wait_loadcnt 0x1
	v_wmma_f32_16x16x16_fp8_fp8 v[24:31], v[98:99], v[0:1], v[24:31]
	s_delay_alu instid0(VALU_DEP_1) | instskip(SKIP_1) | instid1(VALU_DEP_1)
	v_wmma_f32_16x16x16_fp8_fp8 v[24:31], v[100:101], v[2:3], v[24:31]
	s_wait_loadcnt 0x0
	v_wmma_f32_16x16x16_fp8_fp8 v[24:31], v[112:113], v[4:5], v[24:31]
	s_delay_alu instid0(VALU_DEP_1)
	v_wmma_f32_16x16x16_fp8_fp8 v[24:31], v[114:115], v[6:7], v[24:31]
	s_clause 0x1
	flat_store_b128 v[52:53], v[28:31] offset:112
	flat_store_b128 v[52:53], v[24:27] offset:96
	s_clause 0x3
	flat_load_b64 v[7:8], v[64:65] offset:1148
	flat_load_b64 v[9:10], v[64:65] offset:1164
	flat_load_b128 v[0:3], v[64:65] offset:1176
	flat_load_b96 v[4:6], v[64:65] offset:1132
	s_wait_loadcnt_dscnt 0x202
	v_sub_nc_u32_e32 v7, v7, v10
	s_wait_loadcnt_dscnt 0x101
	v_add_nc_u32_e32 v0, v9, v0
	s_wait_loadcnt_dscnt 0x0
	v_sub_nc_u32_e32 v2, v4, v2
	v_add3_u32 v1, v7, v1, 32
	v_sub_nc_u32_e32 v7, v8, v9
	v_sub_nc_u32_e32 v8, v8, v0
	s_delay_alu instid0(VALU_DEP_3) | instskip(NEXT) | instid1(VALU_DEP_1)
	v_ashrrev_i32_e32 v10, 31, v1
	v_lshrrev_b32_e32 v10, 29, v10
	s_delay_alu instid0(VALU_DEP_1) | instskip(NEXT) | instid1(VALU_DEP_1)
	v_add_nc_u32_e32 v10, v1, v10
	v_and_b32_e32 v10, -8, v10
	s_delay_alu instid0(VALU_DEP_1) | instskip(SKIP_1) | instid1(VALU_DEP_2)
	v_sub_nc_u32_e32 v12, v1, v10
	v_sub_nc_u32_e32 v1, v1, v6
	v_xor_b32_e32 v7, v12, v7
	s_delay_alu instid0(VALU_DEP_2) | instskip(NEXT) | instid1(VALU_DEP_2)
	v_lshlrev_b32_e32 v1, 7, v1
	v_sub_nc_u32_e32 v6, v7, v5
	s_delay_alu instid0(VALU_DEP_2) | instskip(NEXT) | instid1(VALU_DEP_2)
	v_add_nc_u32_e32 v2, v2, v1
	v_lshlrev_b32_e32 v6, 4, v6
	s_delay_alu instid0(VALU_DEP_1)
	v_add3_u32 v10, v1, v4, v6
	flat_load_b64 v[6:7], v[54:55]
	v_ashrrev_i32_e32 v11, 31, v10
	s_wait_loadcnt_dscnt 0x0
	v_add_co_u32 v10, vcc_lo, v6, v10
	s_wait_alu 0xfffd
	s_delay_alu instid0(VALU_DEP_2) | instskip(SKIP_2) | instid1(VALU_DEP_1)
	v_add_co_ci_u32_e64 v11, null, v7, v11, vcc_lo
	flat_load_b128 v[116:119], v[10:11]
	v_add_nc_u32_e32 v10, 16, v3
	v_ashrrev_i32_e32 v11, 31, v10
	s_delay_alu instid0(VALU_DEP_1) | instskip(NEXT) | instid1(VALU_DEP_1)
	v_lshrrev_b32_e32 v11, 28, v11
	v_add_nc_u32_e32 v11, v10, v11
	s_delay_alu instid0(VALU_DEP_1) | instskip(SKIP_1) | instid1(VALU_DEP_2)
	v_lshrrev_b32_e32 v13, 4, v11
	v_and_b32_e32 v11, -16, v11
	v_add_nc_u32_e32 v0, v13, v8
	s_delay_alu instid0(VALU_DEP_2) | instskip(NEXT) | instid1(VALU_DEP_2)
	v_sub_nc_u32_e32 v10, v10, v11
	v_xor_b32_e32 v0, v0, v12
	s_delay_alu instid0(VALU_DEP_1) | instskip(NEXT) | instid1(VALU_DEP_1)
	v_sub_nc_u32_e32 v0, v0, v5
	v_lshlrev_b32_e32 v0, 4, v0
	s_delay_alu instid0(VALU_DEP_1) | instskip(NEXT) | instid1(VALU_DEP_1)
	v_add3_u32 v0, v10, v2, v0
	v_ashrrev_i32_e32 v1, 31, v0
	v_add_co_u32 v0, vcc_lo, v6, v0
	s_wait_alu 0xfffd
	s_delay_alu instid0(VALU_DEP_2) | instskip(SKIP_2) | instid1(VALU_DEP_1)
	v_add_co_ci_u32_e64 v1, null, v7, v1, vcc_lo
	flat_load_b128 v[128:131], v[0:1]
	v_add_nc_u32_e32 v0, 64, v3
	v_ashrrev_i32_e32 v1, 31, v0
	s_delay_alu instid0(VALU_DEP_1) | instskip(NEXT) | instid1(VALU_DEP_1)
	v_lshrrev_b32_e32 v1, 28, v1
	v_add_nc_u32_e32 v1, v0, v1
	s_delay_alu instid0(VALU_DEP_1) | instskip(SKIP_1) | instid1(VALU_DEP_1)
	v_lshrrev_b32_e32 v4, 4, v1
	v_and_b32_e32 v1, -16, v1
	v_sub_nc_u32_e32 v0, v0, v1
	s_delay_alu instid0(VALU_DEP_3) | instskip(NEXT) | instid1(VALU_DEP_1)
	v_add_nc_u32_e32 v1, v4, v8
	v_xor_b32_e32 v1, v1, v12
	s_delay_alu instid0(VALU_DEP_1) | instskip(NEXT) | instid1(VALU_DEP_1)
	v_sub_nc_u32_e32 v1, v1, v5
	v_lshlrev_b32_e32 v1, 4, v1
	s_delay_alu instid0(VALU_DEP_1) | instskip(NEXT) | instid1(VALU_DEP_1)
	v_add3_u32 v0, v0, v2, v1
	v_ashrrev_i32_e32 v1, 31, v0
	v_add_co_u32 v0, vcc_lo, v6, v0
	s_wait_alu 0xfffd
	s_delay_alu instid0(VALU_DEP_2) | instskip(SKIP_2) | instid1(VALU_DEP_1)
	v_add_co_ci_u32_e64 v1, null, v7, v1, vcc_lo
	flat_load_b128 v[98:101], v[0:1]
	v_add_nc_u32_e32 v0, 0x50, v3
	v_ashrrev_i32_e32 v1, 31, v0
	s_delay_alu instid0(VALU_DEP_1) | instskip(NEXT) | instid1(VALU_DEP_1)
	v_lshrrev_b32_e32 v1, 28, v1
	v_add_nc_u32_e32 v1, v0, v1
	s_delay_alu instid0(VALU_DEP_1) | instskip(SKIP_1) | instid1(VALU_DEP_1)
	v_lshrrev_b32_e32 v3, 4, v1
	v_and_b32_e32 v1, -16, v1
	v_sub_nc_u32_e32 v0, v0, v1
	s_delay_alu instid0(VALU_DEP_3) | instskip(SKIP_1) | instid1(VALU_DEP_2)
	v_add_nc_u32_e32 v1, v3, v8
	v_mov_b32_e32 v3, s1
	v_xor_b32_e32 v1, v1, v12
	s_delay_alu instid0(VALU_DEP_1) | instskip(NEXT) | instid1(VALU_DEP_1)
	v_sub_nc_u32_e32 v1, v1, v5
	v_lshlrev_b32_e32 v1, 4, v1
	s_delay_alu instid0(VALU_DEP_1) | instskip(SKIP_2) | instid1(VALU_DEP_2)
	v_add3_u32 v0, v0, v2, v1
	s_wait_alu 0xfffe
	v_mov_b32_e32 v2, s0
	v_ashrrev_i32_e32 v1, 31, v0
	v_add_co_u32 v0, vcc_lo, v6, v0
	s_wait_alu 0xfffd
	s_delay_alu instid0(VALU_DEP_2)
	v_add_co_ci_u32_e64 v1, null, v7, v1, vcc_lo
	flat_load_b128 v[112:115], v[0:1]
	v_dual_mov_b32 v0, s33 :: v_dual_mov_b32 v1, s1
	s_swappc_b64 s[30:31], s[2:3]
	; sched_group_barrier mask(0x00000008) size(4) SyncID(0)
	; sched_group_barrier mask(0x00000020) size(1) SyncID(0)
	;; [unrolled: 1-line block ×24, first 2 shown]
	; sched_barrier mask(0x00000000)
	s_clause 0x8
	flat_load_u8 v4, v[86:87] offset:288
	flat_load_u8 v8, v[86:87] offset:304
	flat_load_b128 v[0:3], v[86:87]
	flat_load_u8 v12, v[86:87] offset:320
	flat_load_u8 v16, v[86:87] offset:336
	flat_load_u8 v20, v[86:87] offset:352
	flat_load_u8 v24, v[86:87] offset:368
	flat_load_u8 v28, v[86:87] offset:384
	flat_load_u8 v31, v[86:87] offset:400
	s_add_co_i32 s0, s33, 0x200
	s_wait_loadcnt_dscnt 0x808
	v_and_b32_e32 v4, 1, v4
	s_wait_loadcnt_dscnt 0x707
	v_and_b32_e32 v8, 1, v8
	;; [unrolled: 2-line block ×4, first 2 shown]
	v_cmp_eq_u32_e32 vcc_lo, 1, v4
	flat_load_b128 v[4:7], v[86:87] offset:16
	s_wait_loadcnt_dscnt 0x404
	v_and_b32_e32 v20, 1, v20
	s_wait_loadcnt_dscnt 0x303
	v_and_b32_e32 v24, 1, v24
	s_wait_loadcnt_dscnt 0x202
	s_wait_alu 0xfffd
	v_dual_cndmask_b32 v3, 0, v3 :: v_dual_and_b32 v28, 1, v28
	v_dual_cndmask_b32 v2, 0, v2 :: v_dual_cndmask_b32 v1, 0, v1
	v_cndmask_b32_e32 v0, 0, v0, vcc_lo
	v_cmp_eq_u32_e32 vcc_lo, 1, v8
	flat_load_b128 v[8:11], v[86:87] offset:32
	s_wait_loadcnt_dscnt 0x202
	v_and_b32_e32 v31, 1, v31
	s_clause 0x1
	flat_store_b128 v[86:87], v[0:3]
	flat_store_b128 v[86:87], v[0:3] offset:560
	s_wait_loadcnt_dscnt 0x103
	s_wait_alu 0xfffd
	v_dual_cndmask_b32 v7, 0, v7 :: v_dual_cndmask_b32 v6, 0, v6
	v_dual_cndmask_b32 v5, 0, v5 :: v_dual_cndmask_b32 v4, 0, v4
	v_cmp_eq_u32_e32 vcc_lo, 1, v12
	flat_load_b128 v[12:15], v[86:87] offset:48
	flat_store_b128 v[86:87], v[4:7] offset:16
	s_wait_loadcnt_dscnt 0x104
	s_wait_alu 0xfffd
	v_dual_cndmask_b32 v11, 0, v11 :: v_dual_cndmask_b32 v10, 0, v10
	v_dual_cndmask_b32 v9, 0, v9 :: v_dual_cndmask_b32 v8, 0, v8
	v_cmp_eq_u32_e32 vcc_lo, 1, v16
	flat_load_b128 v[16:19], v[86:87] offset:64
	v_perm_b32 v4, v4, v4, 0x3020104
	v_alignbit_b32 v7, v7, v6, 24
	v_perm_b32 v6, v6, v6, 0x3060504
	s_clause 0x1
	flat_store_b128 v[86:87], v[8:11] offset:32
	flat_store_b96 v[86:87], v[4:6] offset:576
	flat_load_b32 v4, v[86:87] offset:31
	v_alignbit_b32 v5, v9, v8, 24
	v_perm_b32 v6, v9, v10, 0x2010007
	s_wait_loadcnt_dscnt 0x205
	s_wait_alu 0xfffd
	v_dual_cndmask_b32 v15, 0, v15 :: v_dual_cndmask_b32 v14, 0, v14
	v_dual_cndmask_b32 v13, 0, v13 :: v_dual_cndmask_b32 v12, 0, v12
	v_cmp_eq_u32_e32 vcc_lo, 1, v20
	flat_load_b128 v[20:23], v[86:87] offset:80
	flat_store_b128 v[86:87], v[12:15] offset:48
	s_wait_loadcnt_dscnt 0x205
	s_wait_alu 0xfffd
	v_dual_cndmask_b32 v19, 0, v19 :: v_dual_cndmask_b32 v18, 0, v18
	v_dual_cndmask_b32 v17, 0, v17 :: v_dual_cndmask_b32 v16, 0, v16
	v_cmp_eq_u32_e32 vcc_lo, 1, v24
	flat_load_b128 v[24:27], v[86:87] offset:96
	flat_store_b128 v[86:87], v[16:19] offset:64
	s_wait_loadcnt_dscnt 0x103
	s_wait_alu 0xfffd
	v_dual_cndmask_b32 v23, 0, v23 :: v_dual_cndmask_b32 v22, 0, v22
	v_dual_cndmask_b32 v21, 0, v21 :: v_dual_cndmask_b32 v20, 0, v20
	v_cmp_eq_u32_e32 vcc_lo, 1, v28
	flat_store_b128 v[86:87], v[20:23] offset:80
	s_wait_loadcnt_dscnt 0x2
	s_wait_alu 0xfffd
	v_dual_cndmask_b32 v25, 0, v25 :: v_dual_cndmask_b32 v24, 0, v24
	v_dual_cndmask_b32 v27, 0, v27 :: v_dual_cndmask_b32 v26, 0, v26
	v_cmp_eq_u32_e32 vcc_lo, 1, v31
	flat_store_b128 v[86:87], v[24:27] offset:96
	flat_load_b128 v[27:30], v[86:87] offset:112
	s_wait_loadcnt_dscnt 0x0
	s_wait_alu 0xfffd
	v_dual_cndmask_b32 v30, 0, v30 :: v_dual_cndmask_b32 v29, 0, v29
	v_dual_cndmask_b32 v28, 0, v28 :: v_dual_cndmask_b32 v27, 0, v27
	flat_store_b128 v[86:87], v[27:30] offset:112
	v_lshrrev_b32_e32 v27, 16, v7
	v_lshrrev_b32_e32 v28, 8, v7
	;; [unrolled: 1-line block ×3, first 2 shown]
	s_delay_alu instid0(VALU_DEP_3) | instskip(NEXT) | instid1(VALU_DEP_3)
	v_lshlrev_b16 v27, 8, v27
	v_and_b32_e32 v28, 0xff, v28
	flat_store_b8 v[86:87], v7 offset:590
	v_alignbit_b32 v7, v11, v10, 24
	flat_load_u8 v11, v[86:87] offset:127
	v_or_b32_e32 v27, v28, v27
	flat_store_b128 v[86:87], v[4:7] offset:591
	flat_load_b32 v4, v[86:87] offset:47
	v_alignbit_b32 v5, v13, v12, 24
	v_perm_b32 v6, v13, v14, 0x2010007
	v_alignbit_b32 v7, v15, v14, 24
	flat_store_b16 v[86:87], v27 offset:588
	s_wait_loadcnt_dscnt 0x103
	flat_store_b8 v[86:87], v11 offset:687
	s_wait_loadcnt_dscnt 0x2
	flat_store_b128 v[86:87], v[4:7] offset:607
	flat_load_b32 v4, v[86:87] offset:63
	v_alignbit_b32 v5, v17, v16, 24
	v_perm_b32 v6, v17, v18, 0x2010007
	v_alignbit_b32 v7, v19, v18, 24
	s_wait_loadcnt_dscnt 0x0
	flat_store_b128 v[86:87], v[4:7] offset:623
	flat_load_b32 v4, v[86:87] offset:79
	v_alignbit_b32 v5, v21, v20, 24
	v_perm_b32 v6, v21, v22, 0x2010007
	v_alignbit_b32 v7, v23, v22, 24
	s_wait_loadcnt_dscnt 0x0
	flat_store_b128 v[86:87], v[4:7] offset:639
	s_clause 0x1
	flat_load_b32 v4, v[86:87] offset:95
	flat_load_b128 v[7:10], v[86:87] offset:107
	v_alignbit_b32 v5, v25, v24, 24
	v_perm_b32 v6, v25, v26, 0x2010007
	s_wait_loadcnt_dscnt 0x0
	flat_store_b128 v[86:87], v[4:7] offset:655
	flat_load_b32 v7, v[86:87] offset:123
	v_dual_mov_b32 v4, v8 :: v_dual_mov_b32 v5, v9
	v_mov_b32_e32 v6, v10
	s_wait_loadcnt_dscnt 0x0
	flat_store_b128 v[86:87], v[4:7] offset:671
	flat_load_b32 v6, v[86:87] offset:728
	flat_load_b64 v[4:5], v[54:55] offset:16
	s_wait_loadcnt_dscnt 0x101
	v_ashrrev_i32_e32 v7, 31, v6
	s_wait_loadcnt_dscnt 0x0
	v_add_co_u32 v4, vcc_lo, v4, v6
	s_wait_alu 0xfffd
	s_delay_alu instid0(VALU_DEP_2)
	v_add_co_ci_u32_e64 v5, null, v5, v7, vcc_lo
	flat_store_b128 v[4:5], v[0:3]
	s_clause 0x1
	flat_load_b32 v0, v[86:87] offset:776
	flat_load_b32 v1, v[86:87] offset:744
	s_wait_loadcnt_dscnt 0x101
	v_add_nc_u32_e32 v103, 1, v0
	flat_load_b32 v0, v[86:87] offset:764
	flat_store_b32 v[86:87], v103 offset:776
	s_wait_loadcnt_dscnt 0x1
	v_sub_nc_u32_e32 v0, v103, v0
	s_delay_alu instid0(VALU_DEP_1)
	v_add_nc_u32_e32 v4, v1, v0
	flat_load_b128 v[0:3], v[86:87] offset:748
	flat_store_b64 v[86:87], v[102:103] offset:760
	s_wait_loadcnt_dscnt 0x1
	v_sub_nc_u32_e32 v5, v0, v3
	flat_load_b96 v[0:2], v[86:87] offset:728
	v_ashrrev_i32_e32 v3, 31, v4
	flat_store_b64 v[86:87], v[4:5] offset:744
	v_lshrrev_b32_e32 v3, 29, v3
	s_delay_alu instid0(VALU_DEP_1) | instskip(NEXT) | instid1(VALU_DEP_1)
	v_add_nc_u32_e32 v3, v4, v3
	v_and_b32_e32 v3, -8, v3
	s_delay_alu instid0(VALU_DEP_1) | instskip(NEXT) | instid1(VALU_DEP_1)
	v_sub_nc_u32_e32 v3, v4, v3
	v_xor_b32_e32 v3, v5, v3
	s_wait_loadcnt_dscnt 0x1
	v_sub_nc_u32_e32 v2, v4, v2
	s_delay_alu instid0(VALU_DEP_2) | instskip(NEXT) | instid1(VALU_DEP_2)
	v_sub_nc_u32_e32 v1, v3, v1
	v_lshlrev_b32_e32 v2, 7, v2
	s_delay_alu instid0(VALU_DEP_2) | instskip(NEXT) | instid1(VALU_DEP_1)
	v_lshlrev_b32_e32 v1, 4, v1
	v_add3_u32 v2, v2, v1, v0
	flat_store_b96 v[86:87], v[2:4] offset:728
	flat_load_b64 v[0:1], v[54:55] offset:16
	v_ashrrev_i32_e32 v3, 31, v2
	s_wait_loadcnt_dscnt 0x0
	v_add_co_u32 v4, vcc_lo, v0, v2
	s_wait_alu 0xfffd
	s_delay_alu instid0(VALU_DEP_2)
	v_add_co_ci_u32_e64 v5, null, v1, v3, vcc_lo
	flat_load_b128 v[0:3], v[86:87] offset:576
	s_wait_loadcnt_dscnt 0x0
	flat_store_b128 v[4:5], v[0:3]
	s_clause 0x1
	flat_load_b32 v0, v[86:87] offset:776
	flat_load_b32 v1, v[86:87] offset:744
	s_wait_loadcnt_dscnt 0x101
	v_add_nc_u32_e32 v103, 1, v0
	flat_load_b32 v0, v[86:87] offset:764
	flat_store_b32 v[86:87], v103 offset:776
	s_wait_loadcnt_dscnt 0x1
	v_sub_nc_u32_e32 v0, v103, v0
	s_delay_alu instid0(VALU_DEP_1)
	v_add_nc_u32_e32 v4, v1, v0
	flat_load_b128 v[0:3], v[86:87] offset:748
	flat_store_b64 v[86:87], v[102:103] offset:760
	s_wait_loadcnt_dscnt 0x1
	v_sub_nc_u32_e32 v5, v0, v3
	flat_load_b96 v[0:2], v[86:87] offset:728
	v_ashrrev_i32_e32 v3, 31, v4
	flat_store_b64 v[86:87], v[4:5] offset:744
	v_lshrrev_b32_e32 v3, 29, v3
	s_delay_alu instid0(VALU_DEP_1) | instskip(NEXT) | instid1(VALU_DEP_1)
	v_add_nc_u32_e32 v3, v4, v3
	v_and_b32_e32 v3, -8, v3
	s_delay_alu instid0(VALU_DEP_1) | instskip(NEXT) | instid1(VALU_DEP_1)
	v_sub_nc_u32_e32 v3, v4, v3
	v_xor_b32_e32 v3, v5, v3
	s_wait_loadcnt_dscnt 0x1
	v_sub_nc_u32_e32 v2, v4, v2
	s_delay_alu instid0(VALU_DEP_2) | instskip(NEXT) | instid1(VALU_DEP_2)
	v_sub_nc_u32_e32 v1, v3, v1
	v_lshlrev_b32_e32 v2, 7, v2
	s_delay_alu instid0(VALU_DEP_2) | instskip(NEXT) | instid1(VALU_DEP_1)
	v_lshlrev_b32_e32 v1, 4, v1
	v_add3_u32 v2, v2, v1, v0
	flat_store_b96 v[86:87], v[2:4] offset:728
	flat_load_b64 v[0:1], v[54:55] offset:16
	v_ashrrev_i32_e32 v3, 31, v2
	s_wait_loadcnt_dscnt 0x0
	v_add_co_u32 v4, vcc_lo, v0, v2
	s_wait_alu 0xfffd
	s_delay_alu instid0(VALU_DEP_2)
	v_add_co_ci_u32_e64 v5, null, v1, v3, vcc_lo
	flat_load_b128 v[0:3], v[86:87] offset:592
	s_wait_loadcnt_dscnt 0x0
	;; [unrolled: 44-line block ×7, first 2 shown]
	flat_store_b128 v[4:5], v[0:3]
	flat_load_b32 v0, v[86:87] offset:776
	s_clause 0x7
	scratch_load_b128 v[6:9], off, s33 offset:512
	scratch_load_b128 v[10:13], off, s33 offset:528
	;; [unrolled: 1-line block ×8, first 2 shown]
	s_wait_loadcnt_dscnt 0x800
	v_add_nc_u32_e32 v103, -7, v0
	flat_load_b64 v[0:1], v[86:87] offset:760
	s_wait_loadcnt 0x8
	v_perm_b32 v15, v7, v7, 0x3020104
	v_perm_b32 v14, v6, v6, 0x3020504
	s_clause 0x1
	flat_store_b32 v[86:87], v103 offset:776
	flat_store_b64 v[86:87], v[102:103] offset:760
	s_wait_loadcnt_dscnt 0x2
	v_sub_nc_u32_e32 v3, v103, v1
	flat_load_b64 v[1:2], v[86:87] offset:744
	s_wait_loadcnt_dscnt 0x0
	v_add_nc_u32_e32 v4, v1, v3
	v_sub_nc_u32_e32 v5, v2, v0
	flat_load_b96 v[0:2], v[86:87] offset:728
	v_ashrrev_i32_e32 v3, 31, v4
	flat_store_b64 v[86:87], v[4:5] offset:744
	v_lshrrev_b32_e32 v3, 29, v3
	s_delay_alu instid0(VALU_DEP_1) | instskip(NEXT) | instid1(VALU_DEP_1)
	v_add_nc_u32_e32 v3, v4, v3
	v_and_b32_e32 v3, -8, v3
	s_delay_alu instid0(VALU_DEP_1) | instskip(NEXT) | instid1(VALU_DEP_1)
	v_sub_nc_u32_e32 v3, v4, v3
	v_xor_b32_e32 v3, v5, v3
	s_wait_loadcnt_dscnt 0x1
	v_sub_nc_u32_e32 v2, v4, v2
	s_delay_alu instid0(VALU_DEP_2) | instskip(NEXT) | instid1(VALU_DEP_2)
	v_sub_nc_u32_e32 v1, v3, v1
	v_lshlrev_b32_e32 v2, 7, v2
	s_delay_alu instid0(VALU_DEP_2) | instskip(NEXT) | instid1(VALU_DEP_1)
	v_lshlrev_b32_e32 v1, 4, v1
	v_add3_u32 v2, v2, v1, v0
	flat_store_b96 v[86:87], v[2:4] offset:728
	s_clause 0x1
	flat_load_b128 v[4:7], v[52:53] offset:144
	flat_load_b128 v[0:3], v[52:53] offset:128
	s_wait_loadcnt_dscnt 0x0
	v_wmma_f32_16x16x16_fp8_fp8 v[0:7], v[116:117], v[14:15], v[0:7]
	s_delay_alu instid0(VALU_DEP_1) | instskip(NEXT) | instid1(VALU_DEP_1)
	v_wmma_f32_16x16x16_fp8_fp8 v[0:7], v[118:119], v[8:9], v[0:7]
	v_wmma_f32_16x16x16_fp8_fp8 v[0:7], v[128:129], v[10:11], v[0:7]
	flat_load_b128 v[8:11], v[52:53] offset:160
	v_wmma_f32_16x16x16_fp8_fp8 v[0:7], v[130:131], v[12:13], v[0:7]
	flat_load_b128 v[12:15], v[52:53] offset:176
	s_wait_loadcnt_dscnt 0x0
	v_wmma_f32_16x16x16_fp8_fp8 v[8:15], v[116:117], v[16:17], v[8:15]
	s_delay_alu instid0(VALU_DEP_1) | instskip(SKIP_2) | instid1(VALU_DEP_1)
	v_wmma_f32_16x16x16_fp8_fp8 v[8:15], v[118:119], v[18:19], v[8:15]
	flat_load_b128 v[16:19], v[52:53] offset:192
	v_wmma_f32_16x16x16_fp8_fp8 v[8:15], v[128:129], v[20:21], v[8:15]
	v_wmma_f32_16x16x16_fp8_fp8 v[8:15], v[130:131], v[22:23], v[8:15]
	flat_load_b128 v[20:23], v[52:53] offset:208
	s_wait_loadcnt_dscnt 0x0
	v_wmma_f32_16x16x16_fp8_fp8 v[16:23], v[116:117], v[24:25], v[16:23]
	s_delay_alu instid0(VALU_DEP_1) | instskip(SKIP_2) | instid1(VALU_DEP_1)
	v_wmma_f32_16x16x16_fp8_fp8 v[16:23], v[118:119], v[26:27], v[16:23]
	flat_load_b128 v[24:27], v[52:53] offset:224
	v_wmma_f32_16x16x16_fp8_fp8 v[16:23], v[128:129], v[28:29], v[16:23]
	v_wmma_f32_16x16x16_fp8_fp8 v[16:23], v[130:131], v[30:31], v[16:23]
	flat_load_b128 v[28:31], v[52:53] offset:240
	s_wait_loadcnt_dscnt 0x0
	v_wmma_f32_16x16x16_fp8_fp8 v[24:31], v[116:117], v[32:33], v[24:31]
	s_delay_alu instid0(VALU_DEP_1) | instskip(SKIP_2) | instid1(VALU_DEP_1)
	v_wmma_f32_16x16x16_fp8_fp8 v[24:31], v[118:119], v[34:35], v[24:31]
	scratch_load_b128 v[32:35], off, s33 offset:544
	v_wmma_f32_16x16x16_fp8_fp8 v[24:31], v[128:129], v[36:37], v[24:31]
	v_wmma_f32_16x16x16_fp8_fp8 v[24:31], v[130:131], v[38:39], v[24:31]
	scratch_load_b128 v[36:39], off, s33 offset:560
	s_wait_loadcnt 0x1
	v_wmma_f32_16x16x16_fp8_fp8 v[0:7], v[98:99], v[32:33], v[0:7]
	s_delay_alu instid0(VALU_DEP_1) | instskip(SKIP_1) | instid1(VALU_DEP_1)
	v_wmma_f32_16x16x16_fp8_fp8 v[0:7], v[100:101], v[34:35], v[0:7]
	s_wait_loadcnt 0x0
	v_wmma_f32_16x16x16_fp8_fp8 v[0:7], v[112:113], v[36:37], v[0:7]
	s_delay_alu instid0(VALU_DEP_1)
	v_wmma_f32_16x16x16_fp8_fp8 v[0:7], v[114:115], v[38:39], v[0:7]
	flat_store_b128 v[52:53], v[0:3] offset:128
	scratch_load_b128 v[0:3], off, s33 offset:608
	flat_store_b128 v[52:53], v[4:7] offset:144
	scratch_load_b128 v[4:7], off, s33 offset:624
	s_wait_loadcnt 0x1
	v_nop
	v_wmma_f32_16x16x16_fp8_fp8 v[8:15], v[98:99], v[0:1], v[8:15]
	s_delay_alu instid0(VALU_DEP_1) | instskip(SKIP_3) | instid1(VALU_DEP_1)
	v_wmma_f32_16x16x16_fp8_fp8 v[8:15], v[100:101], v[2:3], v[8:15]
	scratch_load_b128 v[0:3], off, s33 offset:672
	s_wait_loadcnt 0x1
	v_wmma_f32_16x16x16_fp8_fp8 v[8:15], v[112:113], v[4:5], v[8:15]
	v_wmma_f32_16x16x16_fp8_fp8 v[8:15], v[114:115], v[6:7], v[8:15]
	scratch_load_b128 v[4:7], off, s33 offset:688
	s_clause 0x1
	flat_store_b128 v[52:53], v[12:15] offset:176
	flat_store_b128 v[52:53], v[8:11] offset:160
	s_wait_loadcnt 0x1
	v_wmma_f32_16x16x16_fp8_fp8 v[16:23], v[98:99], v[0:1], v[16:23]
	s_delay_alu instid0(VALU_DEP_1) | instskip(SKIP_3) | instid1(VALU_DEP_1)
	v_wmma_f32_16x16x16_fp8_fp8 v[16:23], v[100:101], v[2:3], v[16:23]
	scratch_load_b128 v[0:3], off, s33 offset:736
	s_wait_loadcnt 0x1
	v_wmma_f32_16x16x16_fp8_fp8 v[16:23], v[112:113], v[4:5], v[16:23]
	v_wmma_f32_16x16x16_fp8_fp8 v[16:23], v[114:115], v[6:7], v[16:23]
	scratch_load_b128 v[4:7], off, s33 offset:752
	s_clause 0x1
	flat_store_b128 v[52:53], v[20:23] offset:208
	flat_store_b128 v[52:53], v[16:19] offset:192
	s_wait_loadcnt 0x1
	v_wmma_f32_16x16x16_fp8_fp8 v[24:31], v[98:99], v[0:1], v[24:31]
	s_delay_alu instid0(VALU_DEP_1) | instskip(SKIP_1) | instid1(VALU_DEP_1)
	v_wmma_f32_16x16x16_fp8_fp8 v[24:31], v[100:101], v[2:3], v[24:31]
	s_wait_loadcnt 0x0
	v_wmma_f32_16x16x16_fp8_fp8 v[24:31], v[112:113], v[4:5], v[24:31]
	s_delay_alu instid0(VALU_DEP_1)
	v_wmma_f32_16x16x16_fp8_fp8 v[24:31], v[114:115], v[6:7], v[24:31]
	s_clause 0x1
	flat_store_b128 v[52:53], v[28:31] offset:240
	flat_store_b128 v[52:53], v[24:27] offset:224
	s_clause 0x3
	flat_load_b64 v[7:8], v[64:65] offset:1148
	flat_load_b64 v[9:10], v[64:65] offset:1164
	flat_load_b128 v[0:3], v[64:65] offset:1176
	flat_load_b96 v[4:6], v[64:65] offset:1132
	s_wait_loadcnt_dscnt 0x202
	v_sub_nc_u32_e32 v7, v7, v10
	s_wait_loadcnt_dscnt 0x101
	v_add_nc_u32_e32 v0, v9, v0
	s_wait_loadcnt_dscnt 0x0
	v_sub_nc_u32_e32 v2, v4, v2
	v_add3_u32 v1, v7, v1, 64
	v_sub_nc_u32_e32 v7, v8, v9
	v_sub_nc_u32_e32 v8, v8, v0
	s_delay_alu instid0(VALU_DEP_3) | instskip(NEXT) | instid1(VALU_DEP_1)
	v_ashrrev_i32_e32 v10, 31, v1
	v_lshrrev_b32_e32 v10, 29, v10
	s_delay_alu instid0(VALU_DEP_1) | instskip(NEXT) | instid1(VALU_DEP_1)
	v_add_nc_u32_e32 v10, v1, v10
	v_and_b32_e32 v10, -8, v10
	s_delay_alu instid0(VALU_DEP_1) | instskip(SKIP_1) | instid1(VALU_DEP_2)
	v_sub_nc_u32_e32 v12, v1, v10
	v_sub_nc_u32_e32 v1, v1, v6
	v_xor_b32_e32 v7, v12, v7
	s_delay_alu instid0(VALU_DEP_2) | instskip(NEXT) | instid1(VALU_DEP_2)
	v_lshlrev_b32_e32 v1, 7, v1
	v_sub_nc_u32_e32 v6, v7, v5
	s_delay_alu instid0(VALU_DEP_2) | instskip(NEXT) | instid1(VALU_DEP_2)
	v_add_nc_u32_e32 v2, v2, v1
	v_lshlrev_b32_e32 v6, 4, v6
	s_delay_alu instid0(VALU_DEP_1)
	v_add3_u32 v10, v1, v4, v6
	flat_load_b64 v[6:7], v[54:55]
	v_ashrrev_i32_e32 v11, 31, v10
	s_wait_loadcnt_dscnt 0x0
	v_add_co_u32 v10, vcc_lo, v6, v10
	s_wait_alu 0xfffd
	s_delay_alu instid0(VALU_DEP_2) | instskip(SKIP_2) | instid1(VALU_DEP_1)
	v_add_co_ci_u32_e64 v11, null, v7, v11, vcc_lo
	flat_load_b128 v[116:119], v[10:11]
	v_add_nc_u32_e32 v10, 16, v3
	v_ashrrev_i32_e32 v11, 31, v10
	s_delay_alu instid0(VALU_DEP_1) | instskip(NEXT) | instid1(VALU_DEP_1)
	v_lshrrev_b32_e32 v11, 28, v11
	v_add_nc_u32_e32 v11, v10, v11
	s_delay_alu instid0(VALU_DEP_1) | instskip(SKIP_1) | instid1(VALU_DEP_2)
	v_lshrrev_b32_e32 v13, 4, v11
	v_and_b32_e32 v11, -16, v11
	v_add_nc_u32_e32 v0, v13, v8
	s_delay_alu instid0(VALU_DEP_2) | instskip(NEXT) | instid1(VALU_DEP_2)
	v_sub_nc_u32_e32 v10, v10, v11
	v_xor_b32_e32 v0, v0, v12
	s_delay_alu instid0(VALU_DEP_1) | instskip(NEXT) | instid1(VALU_DEP_1)
	v_sub_nc_u32_e32 v0, v0, v5
	v_lshlrev_b32_e32 v0, 4, v0
	s_delay_alu instid0(VALU_DEP_1) | instskip(NEXT) | instid1(VALU_DEP_1)
	v_add3_u32 v0, v10, v2, v0
	v_ashrrev_i32_e32 v1, 31, v0
	v_add_co_u32 v0, vcc_lo, v6, v0
	s_wait_alu 0xfffd
	s_delay_alu instid0(VALU_DEP_2) | instskip(SKIP_2) | instid1(VALU_DEP_1)
	v_add_co_ci_u32_e64 v1, null, v7, v1, vcc_lo
	flat_load_b128 v[128:131], v[0:1]
	v_add_nc_u32_e32 v0, 64, v3
	v_ashrrev_i32_e32 v1, 31, v0
	s_delay_alu instid0(VALU_DEP_1) | instskip(NEXT) | instid1(VALU_DEP_1)
	v_lshrrev_b32_e32 v1, 28, v1
	v_add_nc_u32_e32 v1, v0, v1
	s_delay_alu instid0(VALU_DEP_1) | instskip(SKIP_1) | instid1(VALU_DEP_1)
	v_lshrrev_b32_e32 v4, 4, v1
	v_and_b32_e32 v1, -16, v1
	v_sub_nc_u32_e32 v0, v0, v1
	s_delay_alu instid0(VALU_DEP_3) | instskip(NEXT) | instid1(VALU_DEP_1)
	v_add_nc_u32_e32 v1, v4, v8
	v_xor_b32_e32 v1, v1, v12
	s_delay_alu instid0(VALU_DEP_1) | instskip(NEXT) | instid1(VALU_DEP_1)
	v_sub_nc_u32_e32 v1, v1, v5
	v_lshlrev_b32_e32 v1, 4, v1
	s_delay_alu instid0(VALU_DEP_1) | instskip(NEXT) | instid1(VALU_DEP_1)
	v_add3_u32 v0, v0, v2, v1
	v_ashrrev_i32_e32 v1, 31, v0
	v_add_co_u32 v0, vcc_lo, v6, v0
	s_wait_alu 0xfffd
	s_delay_alu instid0(VALU_DEP_2) | instskip(SKIP_2) | instid1(VALU_DEP_1)
	v_add_co_ci_u32_e64 v1, null, v7, v1, vcc_lo
	flat_load_b128 v[98:101], v[0:1]
	v_add_nc_u32_e32 v0, 0x50, v3
	v_ashrrev_i32_e32 v1, 31, v0
	s_delay_alu instid0(VALU_DEP_1) | instskip(NEXT) | instid1(VALU_DEP_1)
	v_lshrrev_b32_e32 v1, 28, v1
	v_add_nc_u32_e32 v1, v0, v1
	s_delay_alu instid0(VALU_DEP_1) | instskip(SKIP_1) | instid1(VALU_DEP_1)
	v_lshrrev_b32_e32 v3, 4, v1
	v_and_b32_e32 v1, -16, v1
	v_sub_nc_u32_e32 v0, v0, v1
	s_delay_alu instid0(VALU_DEP_3) | instskip(SKIP_1) | instid1(VALU_DEP_2)
	v_add_nc_u32_e32 v1, v3, v8
	v_mov_b32_e32 v3, s1
	v_xor_b32_e32 v1, v1, v12
	s_delay_alu instid0(VALU_DEP_1) | instskip(NEXT) | instid1(VALU_DEP_1)
	v_sub_nc_u32_e32 v1, v1, v5
	v_lshlrev_b32_e32 v1, 4, v1
	s_delay_alu instid0(VALU_DEP_1) | instskip(SKIP_2) | instid1(VALU_DEP_2)
	v_add3_u32 v0, v0, v2, v1
	s_wait_alu 0xfffe
	v_mov_b32_e32 v2, s0
	v_ashrrev_i32_e32 v1, 31, v0
	v_add_co_u32 v0, vcc_lo, v6, v0
	s_wait_alu 0xfffd
	s_delay_alu instid0(VALU_DEP_2)
	v_add_co_ci_u32_e64 v1, null, v7, v1, vcc_lo
	flat_load_b128 v[112:115], v[0:1]
	v_dual_mov_b32 v0, s33 :: v_dual_mov_b32 v1, s1
	s_swappc_b64 s[30:31], s[2:3]
	; sched_group_barrier mask(0x00000008) size(3) SyncID(0)
	; sched_group_barrier mask(0x00000200) size(1) SyncID(0)
	;; [unrolled: 1-line block ×24, first 2 shown]
	; sched_barrier mask(0x00000000)
	flat_store_b8 v[86:87], v135 offset:288
	flat_load_b128 v[0:3], v[84:85]
	flat_load_b64 v[11:12], v[86:87] offset:704
	s_wait_loadcnt_dscnt 0x101
	v_mov_b32_e32 v3, v133
	s_mov_b32 s2, exec_lo
	v_and_b32_e32 v1, 0xffff, v1
.LBB6_83:                               ;   Parent Loop BB6_64 Depth=1
                                        ; =>  This Inner Loop Header: Depth=2
	v_readfirstlane_b32 s8, v0
	s_delay_alu instid0(VALU_DEP_2) | instskip(SKIP_3) | instid1(VALU_DEP_3)
	v_readfirstlane_b32 s9, v1
	v_readfirstlane_b32 s10, v2
	;; [unrolled: 1-line block ×3, first 2 shown]
	s_wait_alu 0xf1ff
	v_cmp_eq_u64_e32 vcc_lo, s[8:9], v[0:1]
	s_delay_alu instid0(VALU_DEP_2)
	v_cmp_eq_u64_e64 s0, s[10:11], v[2:3]
	s_and_b32 s0, vcc_lo, s0
	s_wait_alu 0xfffe
	s_and_saveexec_b32 s0, s0
	s_wait_loadcnt_dscnt 0x0
	buffer_load_b128 v[4:7], v11, s[8:11], null offen
                                        ; implicit-def: $vgpr0_vgpr1_vgpr2_vgpr3
	s_xor_b32 exec_lo, exec_lo, s0
	s_cbranch_execnz .LBB6_83
; %bb.84:                               ;   in Loop: Header=BB6_64 Depth=1
	s_mov_b32 exec_lo, s2
	flat_load_b96 v[8:10], v[86:87] offset:716
	v_add_nc_u32_e32 v1, 1, v12
	s_mov_b32 s2, exec_lo
	s_wait_loadcnt_dscnt 0x0
	v_add_nc_u32_e32 v0, 1, v10
	s_clause 0x2
	flat_store_b128 v[86:87], v[4:7]
	flat_store_b32 v[86:87], v0 offset:724
	flat_store_b32 v[86:87], v1 offset:708
	flat_load_b32 v0, v[96:97] offset:8
	s_wait_loadcnt_dscnt 0x0
	v_add_nc_u32_e32 v11, v0, v11
	s_clause 0x1
	flat_store_b32 v[86:87], v11 offset:704
	flat_store_b8 v[86:87], v135 offset:304
	flat_load_b128 v[0:3], v[84:85]
	s_wait_loadcnt_dscnt 0x0
	v_mov_b32_e32 v3, v133
	v_and_b32_e32 v1, 0xffff, v1
.LBB6_85:                               ;   Parent Loop BB6_64 Depth=1
                                        ; =>  This Inner Loop Header: Depth=2
	v_readfirstlane_b32 s8, v0
	s_delay_alu instid0(VALU_DEP_2) | instskip(SKIP_3) | instid1(VALU_DEP_3)
	v_readfirstlane_b32 s9, v1
	v_readfirstlane_b32 s10, v2
	v_readfirstlane_b32 s11, v3
	s_wait_alu 0xf1ff
	v_cmp_eq_u64_e32 vcc_lo, s[8:9], v[0:1]
	s_delay_alu instid0(VALU_DEP_2)
	v_cmp_eq_u64_e64 s0, s[10:11], v[2:3]
	s_and_b32 s0, vcc_lo, s0
	s_wait_alu 0xfffe
	s_and_saveexec_b32 s0, s0
	s_wait_loadcnt 0x0
	buffer_load_b128 v[4:7], v11, s[8:11], null offen
                                        ; implicit-def: $vgpr0_vgpr1_vgpr2_vgpr3
	s_xor_b32 exec_lo, exec_lo, s0
	s_cbranch_execnz .LBB6_85
; %bb.86:                               ;   in Loop: Header=BB6_64 Depth=1
	s_mov_b32 exec_lo, s2
	v_add_nc_u32_e32 v0, 2, v10
	v_add_nc_u32_e32 v1, 2, v12
	s_mov_b32 s2, exec_lo
	s_wait_loadcnt 0x0
	s_clause 0x2
	flat_store_b128 v[86:87], v[4:7] offset:16
	flat_store_b32 v[86:87], v0 offset:724
	flat_store_b32 v[86:87], v1 offset:708
	flat_load_b32 v0, v[96:97] offset:8
	s_wait_loadcnt_dscnt 0x0
	v_add_nc_u32_e32 v11, v0, v11
	s_clause 0x1
	flat_store_b32 v[86:87], v11 offset:704
	flat_store_b8 v[86:87], v135 offset:320
	flat_load_b128 v[0:3], v[84:85]
	s_wait_loadcnt_dscnt 0x0
	v_mov_b32_e32 v3, v133
	v_and_b32_e32 v1, 0xffff, v1
.LBB6_87:                               ;   Parent Loop BB6_64 Depth=1
                                        ; =>  This Inner Loop Header: Depth=2
	v_readfirstlane_b32 s8, v0
	s_delay_alu instid0(VALU_DEP_2) | instskip(SKIP_3) | instid1(VALU_DEP_3)
	v_readfirstlane_b32 s9, v1
	v_readfirstlane_b32 s10, v2
	v_readfirstlane_b32 s11, v3
	s_wait_alu 0xf1ff
	v_cmp_eq_u64_e32 vcc_lo, s[8:9], v[0:1]
	s_delay_alu instid0(VALU_DEP_2)
	v_cmp_eq_u64_e64 s0, s[10:11], v[2:3]
	s_and_b32 s0, vcc_lo, s0
	s_wait_alu 0xfffe
	s_and_saveexec_b32 s0, s0
	s_wait_loadcnt 0x0
	buffer_load_b128 v[4:7], v11, s[8:11], null offen
                                        ; implicit-def: $vgpr0_vgpr1_vgpr2_vgpr3
	s_xor_b32 exec_lo, exec_lo, s0
	s_cbranch_execnz .LBB6_87
; %bb.88:                               ;   in Loop: Header=BB6_64 Depth=1
	s_mov_b32 exec_lo, s2
	v_add_nc_u32_e32 v0, 3, v10
	v_add_nc_u32_e32 v1, 3, v12
	s_mov_b32 s2, exec_lo
	s_wait_loadcnt 0x0
	s_clause 0x2
	flat_store_b128 v[86:87], v[4:7] offset:32
	;; [unrolled: 39-line block ×6, first 2 shown]
	flat_store_b32 v[86:87], v0 offset:724
	flat_store_b32 v[86:87], v1 offset:708
	flat_load_b32 v0, v[96:97] offset:8
	s_wait_loadcnt_dscnt 0x0
	v_add_nc_u32_e32 v11, v0, v11
	flat_store_b32 v[86:87], v11 offset:704
	flat_load_b128 v[0:3], v[84:85]
	s_wait_loadcnt_dscnt 0x0
	v_mov_b32_e32 v3, v133
	flat_store_b8 v[86:87], v135 offset:400
	v_and_b32_e32 v1, 0xffff, v1
.LBB6_97:                               ;   Parent Loop BB6_64 Depth=1
                                        ; =>  This Inner Loop Header: Depth=2
	v_readfirstlane_b32 s8, v0
	s_delay_alu instid0(VALU_DEP_2) | instskip(SKIP_3) | instid1(VALU_DEP_3)
	v_readfirstlane_b32 s9, v1
	v_readfirstlane_b32 s10, v2
	;; [unrolled: 1-line block ×3, first 2 shown]
	s_wait_alu 0xf1ff
	v_cmp_eq_u64_e32 vcc_lo, s[8:9], v[0:1]
	s_delay_alu instid0(VALU_DEP_2)
	v_cmp_eq_u64_e64 s0, s[10:11], v[2:3]
	s_and_b32 s0, vcc_lo, s0
	s_wait_alu 0xfffe
	s_and_saveexec_b32 s0, s0
	s_wait_loadcnt 0x0
	buffer_load_b128 v[4:7], v11, s[8:11], null offen
                                        ; implicit-def: $vgpr0_vgpr1_vgpr2_vgpr3
	s_xor_b32 exec_lo, exec_lo, s0
	s_cbranch_execnz .LBB6_97
; %bb.98:                               ;   in Loop: Header=BB6_64 Depth=1
	s_mov_b32 exec_lo, s2
	s_wait_loadcnt 0x0
	flat_store_b128 v[86:87], v[4:7] offset:112
	flat_load_b96 v[0:2], v[82:83]
	s_mov_b32 s0, exec_lo
	s_wait_loadcnt_dscnt 0x0
	v_add_nc_u32_e32 v3, -7, v1
	v_add_nc_u32_e32 v4, v8, v0
	v_add_nc_u32_e32 v6, v1, v10
	;; [unrolled: 1-line block ×3, first 2 shown]
	flat_store_b96 v[86:87], v[4:6] offset:716
	v_cmpx_ne_u32_e32 0, v3
	s_cbranch_execz .LBB6_100
; %bb.99:                               ;   in Loop: Header=BB6_64 Depth=1
	v_add_nc_u32_e32 v1, v1, v12
	flat_store_b32 v[86:87], v1 offset:708
.LBB6_100:                              ;   in Loop: Header=BB6_64 Depth=1
	s_wait_alu 0xfffe
	s_or_b32 exec_lo, exec_lo, s0
	v_or_b32_e32 v4, v2, v0
	v_mov_b32_e32 v1, 0
	s_mov_b32 s0, exec_lo
	s_delay_alu instid0(VALU_DEP_2)
	v_cmpx_ne_u32_e32 0, v4
	s_cbranch_execz .LBB6_102
; %bb.101:                              ;   in Loop: Header=BB6_64 Depth=1
	flat_load_b32 v5, v[96:97] offset:24
	flat_load_b32 v6, v[86:87] offset:712
	v_mov_b32_e32 v1, v2
	s_wait_loadcnt_dscnt 0x101
	s_delay_alu instid0(VALU_DEP_1) | instskip(SKIP_1) | instid1(VALU_DEP_1)
	v_mad_co_u64_u32 v[1:2], null, v5, v0, v[1:2]
	s_wait_loadcnt_dscnt 0x0
	v_add_nc_u32_e32 v0, v1, v6
	flat_store_b32 v[86:87], v0 offset:712
.LBB6_102:                              ;   in Loop: Header=BB6_64 Depth=1
	s_wait_alu 0xfffe
	s_or_b32 exec_lo, exec_lo, s0
	v_or_b32_e32 v0, v4, v3
	s_mov_b32 s0, exec_lo
	s_delay_alu instid0(VALU_DEP_1)
	v_cmpx_ne_u32_e32 0, v0
	s_cbranch_execz .LBB6_104
; %bb.103:                              ;   in Loop: Header=BB6_64 Depth=1
	flat_load_b32 v0, v[96:97] offset:8
	s_wait_loadcnt_dscnt 0x0
	v_mul_lo_u32 v0, v0, v3
	s_delay_alu instid0(VALU_DEP_1)
	v_add3_u32 v0, v1, v11, v0
	flat_store_b32 v[86:87], v0 offset:704
.LBB6_104:                              ;   in Loop: Header=BB6_64 Depth=1
	s_wait_alu 0xfffe
	s_or_b32 exec_lo, exec_lo, s0
	scratch_load_b128 v[6:9], off, s33 offset:512
	flat_load_b128 v[0:3], v[52:53] offset:256
	s_clause 0x6
	scratch_load_b128 v[10:13], off, s33 offset:528
	scratch_load_b128 v[16:19], off, s33 offset:576
	;; [unrolled: 1-line block ×7, first 2 shown]
	s_getpc_b64 s[2:3]
	s_wait_alu 0xfffe
	s_sext_i32_i16 s3, s3
	s_add_co_u32 s2, s2, _ZNK2ck44ThreadwiseTensorSliceTransfer_StaticToStaticINS_7pk_i4_tENS_9f8_fnuz_tEKNS_16TensorDescriptorINS_5TupleIJNS_7UnMergeINS4_IJNS_17integral_constantIiLi4EEENS6_IiLi1EEENS6_IiLi2EEENS6_IiLi32EEEEEELb0EEEEEENS4_IJNS_8SequenceIJLi0EEEEEEENS4_IJNSE_IJLi1ELi2ELi3ELi4EEEEEEESH_NS6_IlLl256EEEEESL_NS_16tensor_operation12element_wise11PassThroughENSE_IJLi4ELi1ELi2ELi32EEEENSE_IJLi1ELi2ELi0ELi3EEEELi3ELi32ELb0EE3RunINS4_IJNS6_IiLi0EEEST_ST_ST_EEESU_NS_12StaticBufferILNS_16AddressSpaceEnumE4ES1_Li256ELb1EEENSV_ILSW_4ES2_Li256ELb1EEEEEvRSL_RKT_RKT1_SZ_RKT0_RT2_@rel32@lo+12
	s_wait_alu 0xfffe
	s_add_co_ci_u32 s3, s3, _ZNK2ck44ThreadwiseTensorSliceTransfer_StaticToStaticINS_7pk_i4_tENS_9f8_fnuz_tEKNS_16TensorDescriptorINS_5TupleIJNS_7UnMergeINS4_IJNS_17integral_constantIiLi4EEENS6_IiLi1EEENS6_IiLi2EEENS6_IiLi32EEEEEELb0EEEEEENS4_IJNS_8SequenceIJLi0EEEEEEENS4_IJNSE_IJLi1ELi2ELi3ELi4EEEEEEESH_NS6_IlLl256EEEEESL_NS_16tensor_operation12element_wise11PassThroughENSE_IJLi4ELi1ELi2ELi32EEEENSE_IJLi1ELi2ELi0ELi3EEEELi3ELi32ELb0EE3RunINS4_IJNS6_IiLi0EEEST_ST_ST_EEESU_NS_12StaticBufferILNS_16AddressSpaceEnumE4ES1_Li256ELb1EEENSV_ILSW_4ES2_Li256ELb1EEEEEvRSL_RKT_RKT1_SZ_RKT0_RT2_@rel32@hi+24
	s_add_co_i32 s0, s33, 0x200
	s_wait_loadcnt 0x8
	v_perm_b32 v15, v7, v7, 0x3020104
	v_perm_b32 v14, v6, v6, 0x3020504
	flat_load_b128 v[4:7], v[52:53] offset:272
	s_wait_loadcnt_dscnt 0x0
	v_wmma_f32_16x16x16_fp8_fp8 v[0:7], v[116:117], v[14:15], v[0:7]
	s_delay_alu instid0(VALU_DEP_1) | instskip(NEXT) | instid1(VALU_DEP_1)
	v_wmma_f32_16x16x16_fp8_fp8 v[0:7], v[118:119], v[8:9], v[0:7]
	v_wmma_f32_16x16x16_fp8_fp8 v[0:7], v[128:129], v[10:11], v[0:7]
	flat_load_b128 v[8:11], v[52:53] offset:288
	v_wmma_f32_16x16x16_fp8_fp8 v[0:7], v[130:131], v[12:13], v[0:7]
	flat_load_b128 v[12:15], v[52:53] offset:304
	s_wait_loadcnt_dscnt 0x0
	v_wmma_f32_16x16x16_fp8_fp8 v[8:15], v[116:117], v[16:17], v[8:15]
	s_delay_alu instid0(VALU_DEP_1) | instskip(SKIP_2) | instid1(VALU_DEP_1)
	v_wmma_f32_16x16x16_fp8_fp8 v[8:15], v[118:119], v[18:19], v[8:15]
	flat_load_b128 v[16:19], v[52:53] offset:320
	v_wmma_f32_16x16x16_fp8_fp8 v[8:15], v[128:129], v[20:21], v[8:15]
	v_wmma_f32_16x16x16_fp8_fp8 v[8:15], v[130:131], v[22:23], v[8:15]
	flat_load_b128 v[20:23], v[52:53] offset:336
	s_wait_loadcnt_dscnt 0x0
	v_wmma_f32_16x16x16_fp8_fp8 v[16:23], v[116:117], v[24:25], v[16:23]
	s_delay_alu instid0(VALU_DEP_1) | instskip(SKIP_2) | instid1(VALU_DEP_1)
	v_wmma_f32_16x16x16_fp8_fp8 v[16:23], v[118:119], v[26:27], v[16:23]
	flat_load_b128 v[24:27], v[52:53] offset:352
	v_wmma_f32_16x16x16_fp8_fp8 v[16:23], v[128:129], v[28:29], v[16:23]
	v_wmma_f32_16x16x16_fp8_fp8 v[16:23], v[130:131], v[30:31], v[16:23]
	flat_load_b128 v[28:31], v[52:53] offset:368
	s_wait_loadcnt_dscnt 0x0
	v_wmma_f32_16x16x16_fp8_fp8 v[24:31], v[116:117], v[32:33], v[24:31]
	s_delay_alu instid0(VALU_DEP_1) | instskip(SKIP_2) | instid1(VALU_DEP_1)
	v_wmma_f32_16x16x16_fp8_fp8 v[24:31], v[118:119], v[34:35], v[24:31]
	scratch_load_b128 v[32:35], off, s33 offset:544
	v_wmma_f32_16x16x16_fp8_fp8 v[24:31], v[128:129], v[36:37], v[24:31]
	v_wmma_f32_16x16x16_fp8_fp8 v[24:31], v[130:131], v[38:39], v[24:31]
	scratch_load_b128 v[36:39], off, s33 offset:560
	s_wait_loadcnt 0x1
	v_wmma_f32_16x16x16_fp8_fp8 v[0:7], v[98:99], v[32:33], v[0:7]
	s_delay_alu instid0(VALU_DEP_1) | instskip(SKIP_1) | instid1(VALU_DEP_1)
	v_wmma_f32_16x16x16_fp8_fp8 v[0:7], v[100:101], v[34:35], v[0:7]
	s_wait_loadcnt 0x0
	v_wmma_f32_16x16x16_fp8_fp8 v[0:7], v[112:113], v[36:37], v[0:7]
	s_delay_alu instid0(VALU_DEP_1)
	v_wmma_f32_16x16x16_fp8_fp8 v[0:7], v[114:115], v[38:39], v[0:7]
	flat_store_b128 v[52:53], v[0:3] offset:256
	scratch_load_b128 v[0:3], off, s33 offset:608
	flat_store_b128 v[52:53], v[4:7] offset:272
	scratch_load_b128 v[4:7], off, s33 offset:624
	s_wait_loadcnt 0x1
	v_nop
	v_wmma_f32_16x16x16_fp8_fp8 v[8:15], v[98:99], v[0:1], v[8:15]
	s_delay_alu instid0(VALU_DEP_1) | instskip(SKIP_3) | instid1(VALU_DEP_1)
	v_wmma_f32_16x16x16_fp8_fp8 v[8:15], v[100:101], v[2:3], v[8:15]
	scratch_load_b128 v[0:3], off, s33 offset:672
	s_wait_loadcnt 0x1
	v_wmma_f32_16x16x16_fp8_fp8 v[8:15], v[112:113], v[4:5], v[8:15]
	v_wmma_f32_16x16x16_fp8_fp8 v[8:15], v[114:115], v[6:7], v[8:15]
	scratch_load_b128 v[4:7], off, s33 offset:688
	s_clause 0x1
	flat_store_b128 v[52:53], v[8:11] offset:288
	flat_store_b128 v[52:53], v[12:15] offset:304
	s_wait_loadcnt 0x1
	v_wmma_f32_16x16x16_fp8_fp8 v[16:23], v[98:99], v[0:1], v[16:23]
	s_delay_alu instid0(VALU_DEP_1) | instskip(SKIP_3) | instid1(VALU_DEP_1)
	v_wmma_f32_16x16x16_fp8_fp8 v[16:23], v[100:101], v[2:3], v[16:23]
	scratch_load_b128 v[0:3], off, s33 offset:736
	s_wait_loadcnt 0x1
	v_wmma_f32_16x16x16_fp8_fp8 v[16:23], v[112:113], v[4:5], v[16:23]
	v_wmma_f32_16x16x16_fp8_fp8 v[16:23], v[114:115], v[6:7], v[16:23]
	scratch_load_b128 v[4:7], off, s33 offset:752
	s_clause 0x1
	flat_store_b128 v[52:53], v[20:23] offset:336
	flat_store_b128 v[52:53], v[16:19] offset:320
	s_wait_loadcnt 0x1
	v_wmma_f32_16x16x16_fp8_fp8 v[24:31], v[98:99], v[0:1], v[24:31]
	s_delay_alu instid0(VALU_DEP_1) | instskip(SKIP_1) | instid1(VALU_DEP_1)
	v_wmma_f32_16x16x16_fp8_fp8 v[24:31], v[100:101], v[2:3], v[24:31]
	s_wait_loadcnt 0x0
	v_wmma_f32_16x16x16_fp8_fp8 v[24:31], v[112:113], v[4:5], v[24:31]
	s_delay_alu instid0(VALU_DEP_1)
	v_wmma_f32_16x16x16_fp8_fp8 v[24:31], v[114:115], v[6:7], v[24:31]
	s_clause 0x1
	flat_store_b128 v[52:53], v[28:31] offset:368
	flat_store_b128 v[52:53], v[24:27] offset:352
	s_clause 0x3
	flat_load_b64 v[7:8], v[64:65] offset:1148
	flat_load_b64 v[9:10], v[64:65] offset:1164
	flat_load_b128 v[0:3], v[64:65] offset:1176
	flat_load_b96 v[4:6], v[64:65] offset:1132
	s_wait_loadcnt_dscnt 0x202
	v_sub_nc_u32_e32 v7, v7, v10
	s_wait_loadcnt_dscnt 0x101
	v_add_nc_u32_e32 v0, v9, v0
	s_wait_loadcnt_dscnt 0x0
	v_sub_nc_u32_e32 v2, v4, v2
	v_add3_u32 v1, v7, v1, 0x60
	v_sub_nc_u32_e32 v7, v8, v9
	v_sub_nc_u32_e32 v8, v8, v0
	s_delay_alu instid0(VALU_DEP_3) | instskip(NEXT) | instid1(VALU_DEP_1)
	v_ashrrev_i32_e32 v10, 31, v1
	v_lshrrev_b32_e32 v10, 29, v10
	s_delay_alu instid0(VALU_DEP_1) | instskip(NEXT) | instid1(VALU_DEP_1)
	v_add_nc_u32_e32 v10, v1, v10
	v_and_b32_e32 v10, -8, v10
	s_delay_alu instid0(VALU_DEP_1) | instskip(SKIP_1) | instid1(VALU_DEP_2)
	v_sub_nc_u32_e32 v12, v1, v10
	v_sub_nc_u32_e32 v1, v1, v6
	v_xor_b32_e32 v7, v12, v7
	s_delay_alu instid0(VALU_DEP_2) | instskip(NEXT) | instid1(VALU_DEP_2)
	v_lshlrev_b32_e32 v1, 7, v1
	v_sub_nc_u32_e32 v6, v7, v5
	s_delay_alu instid0(VALU_DEP_2) | instskip(NEXT) | instid1(VALU_DEP_2)
	v_add_nc_u32_e32 v2, v2, v1
	v_lshlrev_b32_e32 v6, 4, v6
	s_delay_alu instid0(VALU_DEP_1)
	v_add3_u32 v10, v1, v4, v6
	flat_load_b64 v[6:7], v[54:55]
	v_ashrrev_i32_e32 v11, 31, v10
	s_wait_loadcnt_dscnt 0x0
	v_add_co_u32 v10, vcc_lo, v6, v10
	s_wait_alu 0xfffd
	s_delay_alu instid0(VALU_DEP_2) | instskip(SKIP_2) | instid1(VALU_DEP_1)
	v_add_co_ci_u32_e64 v11, null, v7, v11, vcc_lo
	flat_load_b128 v[98:101], v[10:11]
	v_add_nc_u32_e32 v10, 16, v3
	v_ashrrev_i32_e32 v11, 31, v10
	s_delay_alu instid0(VALU_DEP_1) | instskip(NEXT) | instid1(VALU_DEP_1)
	v_lshrrev_b32_e32 v11, 28, v11
	v_add_nc_u32_e32 v11, v10, v11
	s_delay_alu instid0(VALU_DEP_1) | instskip(SKIP_1) | instid1(VALU_DEP_2)
	v_lshrrev_b32_e32 v13, 4, v11
	v_and_b32_e32 v11, -16, v11
	v_add_nc_u32_e32 v0, v13, v8
	s_delay_alu instid0(VALU_DEP_2) | instskip(NEXT) | instid1(VALU_DEP_2)
	v_sub_nc_u32_e32 v10, v10, v11
	v_xor_b32_e32 v0, v0, v12
	s_delay_alu instid0(VALU_DEP_1) | instskip(NEXT) | instid1(VALU_DEP_1)
	v_sub_nc_u32_e32 v0, v0, v5
	v_lshlrev_b32_e32 v0, 4, v0
	s_delay_alu instid0(VALU_DEP_1) | instskip(NEXT) | instid1(VALU_DEP_1)
	v_add3_u32 v0, v10, v2, v0
	v_ashrrev_i32_e32 v1, 31, v0
	v_add_co_u32 v0, vcc_lo, v6, v0
	s_wait_alu 0xfffd
	s_delay_alu instid0(VALU_DEP_2) | instskip(SKIP_2) | instid1(VALU_DEP_1)
	v_add_co_ci_u32_e64 v1, null, v7, v1, vcc_lo
	flat_load_b128 v[112:115], v[0:1]
	v_add_nc_u32_e32 v0, 64, v3
	v_ashrrev_i32_e32 v1, 31, v0
	s_delay_alu instid0(VALU_DEP_1) | instskip(NEXT) | instid1(VALU_DEP_1)
	v_lshrrev_b32_e32 v1, 28, v1
	v_add_nc_u32_e32 v1, v0, v1
	s_delay_alu instid0(VALU_DEP_1) | instskip(SKIP_1) | instid1(VALU_DEP_1)
	v_lshrrev_b32_e32 v4, 4, v1
	v_and_b32_e32 v1, -16, v1
	v_sub_nc_u32_e32 v0, v0, v1
	s_delay_alu instid0(VALU_DEP_3) | instskip(NEXT) | instid1(VALU_DEP_1)
	v_add_nc_u32_e32 v1, v4, v8
	v_xor_b32_e32 v1, v1, v12
	s_delay_alu instid0(VALU_DEP_1) | instskip(NEXT) | instid1(VALU_DEP_1)
	v_sub_nc_u32_e32 v1, v1, v5
	v_lshlrev_b32_e32 v1, 4, v1
	s_delay_alu instid0(VALU_DEP_1) | instskip(NEXT) | instid1(VALU_DEP_1)
	v_add3_u32 v0, v0, v2, v1
	v_ashrrev_i32_e32 v1, 31, v0
	v_add_co_u32 v0, vcc_lo, v6, v0
	s_wait_alu 0xfffd
	s_delay_alu instid0(VALU_DEP_2) | instskip(SKIP_2) | instid1(VALU_DEP_1)
	v_add_co_ci_u32_e64 v1, null, v7, v1, vcc_lo
	flat_load_b128 v[116:119], v[0:1]
	v_add_nc_u32_e32 v0, 0x50, v3
	v_ashrrev_i32_e32 v1, 31, v0
	s_delay_alu instid0(VALU_DEP_1) | instskip(NEXT) | instid1(VALU_DEP_1)
	v_lshrrev_b32_e32 v1, 28, v1
	v_add_nc_u32_e32 v1, v0, v1
	s_delay_alu instid0(VALU_DEP_1) | instskip(SKIP_1) | instid1(VALU_DEP_1)
	v_lshrrev_b32_e32 v3, 4, v1
	v_and_b32_e32 v1, -16, v1
	v_sub_nc_u32_e32 v0, v0, v1
	s_delay_alu instid0(VALU_DEP_3) | instskip(SKIP_1) | instid1(VALU_DEP_2)
	v_add_nc_u32_e32 v1, v3, v8
	v_mov_b32_e32 v3, s1
	v_xor_b32_e32 v1, v1, v12
	s_delay_alu instid0(VALU_DEP_1) | instskip(NEXT) | instid1(VALU_DEP_1)
	v_sub_nc_u32_e32 v1, v1, v5
	v_lshlrev_b32_e32 v1, 4, v1
	s_delay_alu instid0(VALU_DEP_1) | instskip(SKIP_2) | instid1(VALU_DEP_2)
	v_add3_u32 v0, v0, v2, v1
	s_wait_alu 0xfffe
	v_mov_b32_e32 v2, s0
	v_ashrrev_i32_e32 v1, 31, v0
	v_add_co_u32 v0, vcc_lo, v6, v0
	s_wait_alu 0xfffd
	s_delay_alu instid0(VALU_DEP_2)
	v_add_co_ci_u32_e64 v1, null, v7, v1, vcc_lo
	flat_load_b128 v[128:131], v[0:1]
	v_dual_mov_b32 v0, s33 :: v_dual_mov_b32 v1, s1
	s_swappc_b64 s[30:31], s[2:3]
	; sched_group_barrier mask(0x00000008) size(3) SyncID(0)
	; sched_group_barrier mask(0x00000020) size(1) SyncID(0)
	; sched_group_barrier mask(0x00000008) size(1) SyncID(0)
	; sched_group_barrier mask(0x00000100) size(1) SyncID(0)
	; sched_group_barrier mask(0x00000008) size(3) SyncID(0)
	; sched_group_barrier mask(0x00000020) size(1) SyncID(0)
	; sched_group_barrier mask(0x00000008) size(1) SyncID(0)
	; sched_group_barrier mask(0x00000100) size(1) SyncID(0)
	; sched_group_barrier mask(0x00000008) size(3) SyncID(0)
	; sched_group_barrier mask(0x00000020) size(1) SyncID(0)
	; sched_group_barrier mask(0x00000008) size(1) SyncID(0)
	; sched_group_barrier mask(0x00000100) size(1) SyncID(0)
	; sched_group_barrier mask(0x00000008) size(3) SyncID(0)
	; sched_group_barrier mask(0x00000020) size(1) SyncID(0)
	; sched_group_barrier mask(0x00000008) size(1) SyncID(0)
	; sched_group_barrier mask(0x00000100) size(1) SyncID(0)
	; sched_group_barrier mask(0x00000008) size(4) SyncID(0)
	; sched_group_barrier mask(0x00000020) size(1) SyncID(0)
	; sched_group_barrier mask(0x00000008) size(4) SyncID(0)
	; sched_group_barrier mask(0x00000020) size(1) SyncID(0)
	; sched_group_barrier mask(0x00000008) size(4) SyncID(0)
	; sched_group_barrier mask(0x00000020) size(1) SyncID(0)
	; sched_group_barrier mask(0x00000008) size(4) SyncID(0)
	; sched_group_barrier mask(0x00000020) size(1) SyncID(0)
	; sched_barrier mask(0x00000000)
	scratch_load_b128 v[6:9], off, s33 offset:512
	flat_load_b128 v[0:3], v[52:53] offset:384
	s_clause 0x6
	scratch_load_b128 v[10:13], off, s33 offset:528
	scratch_load_b128 v[16:19], off, s33 offset:576
	;; [unrolled: 1-line block ×7, first 2 shown]
	s_add_co_i32 s0, s33, 0x200
	s_wait_loadcnt 0x8
	v_perm_b32 v15, v7, v7, 0x3020104
	v_perm_b32 v14, v6, v6, 0x3020504
	flat_load_b128 v[4:7], v[52:53] offset:400
	s_wait_loadcnt_dscnt 0x0
	v_wmma_f32_16x16x16_fp8_fp8 v[0:7], v[98:99], v[14:15], v[0:7]
	s_delay_alu instid0(VALU_DEP_1) | instskip(NEXT) | instid1(VALU_DEP_1)
	v_wmma_f32_16x16x16_fp8_fp8 v[0:7], v[100:101], v[8:9], v[0:7]
	v_wmma_f32_16x16x16_fp8_fp8 v[0:7], v[112:113], v[10:11], v[0:7]
	flat_load_b128 v[8:11], v[52:53] offset:416
	v_wmma_f32_16x16x16_fp8_fp8 v[0:7], v[114:115], v[12:13], v[0:7]
	flat_load_b128 v[12:15], v[52:53] offset:432
	s_wait_loadcnt_dscnt 0x0
	v_wmma_f32_16x16x16_fp8_fp8 v[8:15], v[98:99], v[16:17], v[8:15]
	s_delay_alu instid0(VALU_DEP_1) | instskip(SKIP_2) | instid1(VALU_DEP_1)
	v_wmma_f32_16x16x16_fp8_fp8 v[8:15], v[100:101], v[18:19], v[8:15]
	flat_load_b128 v[16:19], v[52:53] offset:448
	v_wmma_f32_16x16x16_fp8_fp8 v[8:15], v[112:113], v[20:21], v[8:15]
	v_wmma_f32_16x16x16_fp8_fp8 v[8:15], v[114:115], v[22:23], v[8:15]
	flat_load_b128 v[20:23], v[52:53] offset:464
	s_wait_loadcnt_dscnt 0x0
	v_wmma_f32_16x16x16_fp8_fp8 v[16:23], v[98:99], v[24:25], v[16:23]
	s_delay_alu instid0(VALU_DEP_1) | instskip(SKIP_2) | instid1(VALU_DEP_1)
	v_wmma_f32_16x16x16_fp8_fp8 v[16:23], v[100:101], v[26:27], v[16:23]
	flat_load_b128 v[24:27], v[52:53] offset:480
	v_wmma_f32_16x16x16_fp8_fp8 v[16:23], v[112:113], v[28:29], v[16:23]
	v_wmma_f32_16x16x16_fp8_fp8 v[16:23], v[114:115], v[30:31], v[16:23]
	flat_load_b128 v[28:31], v[52:53] offset:496
	s_wait_loadcnt_dscnt 0x0
	v_wmma_f32_16x16x16_fp8_fp8 v[24:31], v[98:99], v[32:33], v[24:31]
	s_delay_alu instid0(VALU_DEP_1) | instskip(SKIP_2) | instid1(VALU_DEP_1)
	v_wmma_f32_16x16x16_fp8_fp8 v[24:31], v[100:101], v[34:35], v[24:31]
	scratch_load_b128 v[32:35], off, s33 offset:544
	v_wmma_f32_16x16x16_fp8_fp8 v[24:31], v[112:113], v[36:37], v[24:31]
	v_wmma_f32_16x16x16_fp8_fp8 v[24:31], v[114:115], v[38:39], v[24:31]
	scratch_load_b128 v[36:39], off, s33 offset:560
	s_wait_loadcnt 0x1
	v_wmma_f32_16x16x16_fp8_fp8 v[0:7], v[116:117], v[32:33], v[0:7]
	s_delay_alu instid0(VALU_DEP_1) | instskip(SKIP_1) | instid1(VALU_DEP_1)
	v_wmma_f32_16x16x16_fp8_fp8 v[0:7], v[118:119], v[34:35], v[0:7]
	s_wait_loadcnt 0x0
	v_wmma_f32_16x16x16_fp8_fp8 v[0:7], v[128:129], v[36:37], v[0:7]
	s_delay_alu instid0(VALU_DEP_1)
	v_wmma_f32_16x16x16_fp8_fp8 v[0:7], v[130:131], v[38:39], v[0:7]
	flat_store_b128 v[52:53], v[0:3] offset:384
	scratch_load_b128 v[0:3], off, s33 offset:608
	flat_store_b128 v[52:53], v[4:7] offset:400
	scratch_load_b128 v[4:7], off, s33 offset:624
	s_wait_loadcnt 0x1
	v_nop
	v_wmma_f32_16x16x16_fp8_fp8 v[8:15], v[116:117], v[0:1], v[8:15]
	s_delay_alu instid0(VALU_DEP_1) | instskip(SKIP_3) | instid1(VALU_DEP_1)
	v_wmma_f32_16x16x16_fp8_fp8 v[8:15], v[118:119], v[2:3], v[8:15]
	scratch_load_b128 v[0:3], off, s33 offset:672
	s_wait_loadcnt 0x1
	v_wmma_f32_16x16x16_fp8_fp8 v[8:15], v[128:129], v[4:5], v[8:15]
	v_wmma_f32_16x16x16_fp8_fp8 v[8:15], v[130:131], v[6:7], v[8:15]
	scratch_load_b128 v[4:7], off, s33 offset:688
	s_clause 0x1
	flat_store_b128 v[52:53], v[8:11] offset:416
	flat_store_b128 v[52:53], v[12:15] offset:432
	s_wait_loadcnt 0x1
	v_wmma_f32_16x16x16_fp8_fp8 v[16:23], v[116:117], v[0:1], v[16:23]
	s_delay_alu instid0(VALU_DEP_1) | instskip(SKIP_3) | instid1(VALU_DEP_1)
	v_wmma_f32_16x16x16_fp8_fp8 v[16:23], v[118:119], v[2:3], v[16:23]
	scratch_load_b128 v[0:3], off, s33 offset:736
	s_wait_loadcnt 0x1
	v_wmma_f32_16x16x16_fp8_fp8 v[16:23], v[128:129], v[4:5], v[16:23]
	v_wmma_f32_16x16x16_fp8_fp8 v[16:23], v[130:131], v[6:7], v[16:23]
	scratch_load_b128 v[4:7], off, s33 offset:752
	s_clause 0x1
	flat_store_b128 v[52:53], v[20:23] offset:464
	flat_store_b128 v[52:53], v[16:19] offset:448
	s_wait_loadcnt 0x1
	v_wmma_f32_16x16x16_fp8_fp8 v[24:31], v[116:117], v[0:1], v[24:31]
	s_delay_alu instid0(VALU_DEP_1) | instskip(SKIP_1) | instid1(VALU_DEP_1)
	v_wmma_f32_16x16x16_fp8_fp8 v[24:31], v[118:119], v[2:3], v[24:31]
	s_wait_loadcnt 0x0
	v_wmma_f32_16x16x16_fp8_fp8 v[24:31], v[128:129], v[4:5], v[24:31]
	s_delay_alu instid0(VALU_DEP_1)
	v_wmma_f32_16x16x16_fp8_fp8 v[24:31], v[130:131], v[6:7], v[24:31]
	s_clause 0x1
	flat_store_b128 v[52:53], v[28:31] offset:496
	flat_store_b128 v[52:53], v[24:27] offset:480
	s_clause 0x3
	flat_load_b64 v[7:8], v[64:65] offset:1148
	flat_load_b64 v[9:10], v[64:65] offset:1164
	flat_load_b128 v[0:3], v[64:65] offset:1176
	flat_load_b96 v[4:6], v[64:65] offset:1132
	s_wait_loadcnt_dscnt 0x202
	v_sub_nc_u32_e32 v7, v7, v10
	s_wait_loadcnt_dscnt 0x101
	v_add_nc_u32_e32 v0, v9, v0
	s_wait_loadcnt_dscnt 0x0
	v_sub_nc_u32_e32 v2, v4, v2
	v_add3_u32 v1, v7, v1, 0x80
	v_sub_nc_u32_e32 v7, v8, v9
	v_sub_nc_u32_e32 v8, v8, v0
	s_delay_alu instid0(VALU_DEP_3) | instskip(NEXT) | instid1(VALU_DEP_1)
	v_ashrrev_i32_e32 v10, 31, v1
	v_lshrrev_b32_e32 v10, 29, v10
	s_delay_alu instid0(VALU_DEP_1) | instskip(NEXT) | instid1(VALU_DEP_1)
	v_add_nc_u32_e32 v10, v1, v10
	v_and_b32_e32 v10, -8, v10
	s_delay_alu instid0(VALU_DEP_1) | instskip(SKIP_1) | instid1(VALU_DEP_2)
	v_sub_nc_u32_e32 v12, v1, v10
	v_sub_nc_u32_e32 v1, v1, v6
	v_xor_b32_e32 v7, v12, v7
	s_delay_alu instid0(VALU_DEP_2) | instskip(NEXT) | instid1(VALU_DEP_2)
	v_lshlrev_b32_e32 v1, 7, v1
	v_sub_nc_u32_e32 v6, v7, v5
	s_delay_alu instid0(VALU_DEP_2) | instskip(NEXT) | instid1(VALU_DEP_2)
	v_add_nc_u32_e32 v2, v2, v1
	v_lshlrev_b32_e32 v6, 4, v6
	s_delay_alu instid0(VALU_DEP_1)
	v_add3_u32 v10, v1, v4, v6
	flat_load_b64 v[6:7], v[54:55]
	v_ashrrev_i32_e32 v11, 31, v10
	s_wait_loadcnt_dscnt 0x0
	v_add_co_u32 v10, vcc_lo, v6, v10
	s_wait_alu 0xfffd
	s_delay_alu instid0(VALU_DEP_2) | instskip(SKIP_2) | instid1(VALU_DEP_1)
	v_add_co_ci_u32_e64 v11, null, v7, v11, vcc_lo
	flat_load_b128 v[98:101], v[10:11]
	v_add_nc_u32_e32 v10, 16, v3
	v_ashrrev_i32_e32 v11, 31, v10
	s_delay_alu instid0(VALU_DEP_1) | instskip(NEXT) | instid1(VALU_DEP_1)
	v_lshrrev_b32_e32 v11, 28, v11
	v_add_nc_u32_e32 v11, v10, v11
	s_delay_alu instid0(VALU_DEP_1) | instskip(SKIP_1) | instid1(VALU_DEP_2)
	v_lshrrev_b32_e32 v13, 4, v11
	v_and_b32_e32 v11, -16, v11
	v_add_nc_u32_e32 v0, v13, v8
	s_delay_alu instid0(VALU_DEP_2) | instskip(NEXT) | instid1(VALU_DEP_2)
	v_sub_nc_u32_e32 v10, v10, v11
	v_xor_b32_e32 v0, v0, v12
	s_delay_alu instid0(VALU_DEP_1) | instskip(NEXT) | instid1(VALU_DEP_1)
	v_sub_nc_u32_e32 v0, v0, v5
	v_lshlrev_b32_e32 v0, 4, v0
	s_delay_alu instid0(VALU_DEP_1) | instskip(NEXT) | instid1(VALU_DEP_1)
	v_add3_u32 v0, v10, v2, v0
	v_ashrrev_i32_e32 v1, 31, v0
	v_add_co_u32 v0, vcc_lo, v6, v0
	s_wait_alu 0xfffd
	s_delay_alu instid0(VALU_DEP_2) | instskip(SKIP_2) | instid1(VALU_DEP_1)
	v_add_co_ci_u32_e64 v1, null, v7, v1, vcc_lo
	flat_load_b128 v[112:115], v[0:1]
	v_add_nc_u32_e32 v0, 64, v3
	v_ashrrev_i32_e32 v1, 31, v0
	s_delay_alu instid0(VALU_DEP_1) | instskip(NEXT) | instid1(VALU_DEP_1)
	v_lshrrev_b32_e32 v1, 28, v1
	v_add_nc_u32_e32 v1, v0, v1
	s_delay_alu instid0(VALU_DEP_1) | instskip(SKIP_1) | instid1(VALU_DEP_1)
	v_lshrrev_b32_e32 v4, 4, v1
	v_and_b32_e32 v1, -16, v1
	v_sub_nc_u32_e32 v0, v0, v1
	s_delay_alu instid0(VALU_DEP_3) | instskip(NEXT) | instid1(VALU_DEP_1)
	v_add_nc_u32_e32 v1, v4, v8
	v_xor_b32_e32 v1, v1, v12
	s_delay_alu instid0(VALU_DEP_1) | instskip(NEXT) | instid1(VALU_DEP_1)
	v_sub_nc_u32_e32 v1, v1, v5
	v_lshlrev_b32_e32 v1, 4, v1
	s_delay_alu instid0(VALU_DEP_1) | instskip(NEXT) | instid1(VALU_DEP_1)
	v_add3_u32 v0, v0, v2, v1
	v_ashrrev_i32_e32 v1, 31, v0
	v_add_co_u32 v0, vcc_lo, v6, v0
	s_wait_alu 0xfffd
	s_delay_alu instid0(VALU_DEP_2) | instskip(SKIP_2) | instid1(VALU_DEP_1)
	v_add_co_ci_u32_e64 v1, null, v7, v1, vcc_lo
	flat_load_b128 v[116:119], v[0:1]
	v_add_nc_u32_e32 v0, 0x50, v3
	v_ashrrev_i32_e32 v1, 31, v0
	s_delay_alu instid0(VALU_DEP_1) | instskip(NEXT) | instid1(VALU_DEP_1)
	v_lshrrev_b32_e32 v1, 28, v1
	v_add_nc_u32_e32 v1, v0, v1
	s_delay_alu instid0(VALU_DEP_1) | instskip(SKIP_1) | instid1(VALU_DEP_1)
	v_lshrrev_b32_e32 v3, 4, v1
	v_and_b32_e32 v1, -16, v1
	v_sub_nc_u32_e32 v0, v0, v1
	s_delay_alu instid0(VALU_DEP_3) | instskip(SKIP_1) | instid1(VALU_DEP_2)
	v_add_nc_u32_e32 v1, v3, v8
	v_mov_b32_e32 v3, s1
	v_xor_b32_e32 v1, v1, v12
	s_delay_alu instid0(VALU_DEP_1) | instskip(NEXT) | instid1(VALU_DEP_1)
	v_sub_nc_u32_e32 v1, v1, v5
	v_lshlrev_b32_e32 v1, 4, v1
	s_delay_alu instid0(VALU_DEP_1) | instskip(SKIP_2) | instid1(VALU_DEP_2)
	v_add3_u32 v0, v0, v2, v1
	s_wait_alu 0xfffe
	v_mov_b32_e32 v2, s0
	v_ashrrev_i32_e32 v1, 31, v0
	v_add_co_u32 v0, vcc_lo, v6, v0
	s_wait_alu 0xfffd
	s_delay_alu instid0(VALU_DEP_2)
	v_add_co_ci_u32_e64 v1, null, v7, v1, vcc_lo
	flat_load_b128 v[128:131], v[0:1]
	v_dual_mov_b32 v0, s33 :: v_dual_mov_b32 v1, s1
	s_swappc_b64 s[30:31], s[2:3]
	; sched_group_barrier mask(0x00000008) size(8) SyncID(0)
	; sched_group_barrier mask(0x00000100) size(1) SyncID(0)
	;; [unrolled: 1-line block ×8, first 2 shown]
	; sched_barrier mask(0x00000000)
	scratch_load_b128 v[6:9], off, s33 offset:512
	flat_load_b128 v[0:3], v[52:53] offset:512
	s_clause 0x6
	scratch_load_b128 v[10:13], off, s33 offset:528
	scratch_load_b128 v[16:19], off, s33 offset:576
	;; [unrolled: 1-line block ×7, first 2 shown]
	s_add_co_i32 s0, s33, 0x200
	s_wait_loadcnt 0x8
	v_perm_b32 v15, v7, v7, 0x3020104
	v_perm_b32 v14, v6, v6, 0x3020504
	flat_load_b128 v[4:7], v[52:53] offset:528
	s_wait_loadcnt_dscnt 0x0
	v_wmma_f32_16x16x16_fp8_fp8 v[0:7], v[98:99], v[14:15], v[0:7]
	s_delay_alu instid0(VALU_DEP_1) | instskip(NEXT) | instid1(VALU_DEP_1)
	v_wmma_f32_16x16x16_fp8_fp8 v[0:7], v[100:101], v[8:9], v[0:7]
	v_wmma_f32_16x16x16_fp8_fp8 v[0:7], v[112:113], v[10:11], v[0:7]
	flat_load_b128 v[8:11], v[52:53] offset:544
	v_wmma_f32_16x16x16_fp8_fp8 v[0:7], v[114:115], v[12:13], v[0:7]
	flat_load_b128 v[12:15], v[52:53] offset:560
	s_wait_loadcnt_dscnt 0x0
	v_wmma_f32_16x16x16_fp8_fp8 v[8:15], v[98:99], v[16:17], v[8:15]
	s_delay_alu instid0(VALU_DEP_1) | instskip(SKIP_2) | instid1(VALU_DEP_1)
	v_wmma_f32_16x16x16_fp8_fp8 v[8:15], v[100:101], v[18:19], v[8:15]
	flat_load_b128 v[16:19], v[52:53] offset:576
	v_wmma_f32_16x16x16_fp8_fp8 v[8:15], v[112:113], v[20:21], v[8:15]
	v_wmma_f32_16x16x16_fp8_fp8 v[8:15], v[114:115], v[22:23], v[8:15]
	flat_load_b128 v[20:23], v[52:53] offset:592
	s_wait_loadcnt_dscnt 0x0
	v_wmma_f32_16x16x16_fp8_fp8 v[16:23], v[98:99], v[24:25], v[16:23]
	s_delay_alu instid0(VALU_DEP_1) | instskip(SKIP_2) | instid1(VALU_DEP_1)
	v_wmma_f32_16x16x16_fp8_fp8 v[16:23], v[100:101], v[26:27], v[16:23]
	flat_load_b128 v[24:27], v[52:53] offset:608
	v_wmma_f32_16x16x16_fp8_fp8 v[16:23], v[112:113], v[28:29], v[16:23]
	v_wmma_f32_16x16x16_fp8_fp8 v[16:23], v[114:115], v[30:31], v[16:23]
	flat_load_b128 v[28:31], v[52:53] offset:624
	s_wait_loadcnt_dscnt 0x0
	v_wmma_f32_16x16x16_fp8_fp8 v[24:31], v[98:99], v[32:33], v[24:31]
	s_delay_alu instid0(VALU_DEP_1) | instskip(SKIP_2) | instid1(VALU_DEP_1)
	v_wmma_f32_16x16x16_fp8_fp8 v[24:31], v[100:101], v[34:35], v[24:31]
	scratch_load_b128 v[32:35], off, s33 offset:544
	v_wmma_f32_16x16x16_fp8_fp8 v[24:31], v[112:113], v[36:37], v[24:31]
	v_wmma_f32_16x16x16_fp8_fp8 v[24:31], v[114:115], v[38:39], v[24:31]
	scratch_load_b128 v[36:39], off, s33 offset:560
	s_wait_loadcnt 0x1
	v_wmma_f32_16x16x16_fp8_fp8 v[0:7], v[116:117], v[32:33], v[0:7]
	s_delay_alu instid0(VALU_DEP_1) | instskip(SKIP_1) | instid1(VALU_DEP_1)
	v_wmma_f32_16x16x16_fp8_fp8 v[0:7], v[118:119], v[34:35], v[0:7]
	s_wait_loadcnt 0x0
	v_wmma_f32_16x16x16_fp8_fp8 v[0:7], v[128:129], v[36:37], v[0:7]
	s_delay_alu instid0(VALU_DEP_1)
	v_wmma_f32_16x16x16_fp8_fp8 v[0:7], v[130:131], v[38:39], v[0:7]
	flat_store_b128 v[52:53], v[0:3] offset:512
	scratch_load_b128 v[0:3], off, s33 offset:608
	flat_store_b128 v[52:53], v[4:7] offset:528
	scratch_load_b128 v[4:7], off, s33 offset:624
	s_wait_loadcnt 0x1
	v_nop
	v_wmma_f32_16x16x16_fp8_fp8 v[8:15], v[116:117], v[0:1], v[8:15]
	s_delay_alu instid0(VALU_DEP_1) | instskip(SKIP_3) | instid1(VALU_DEP_1)
	v_wmma_f32_16x16x16_fp8_fp8 v[8:15], v[118:119], v[2:3], v[8:15]
	scratch_load_b128 v[0:3], off, s33 offset:672
	s_wait_loadcnt 0x1
	v_wmma_f32_16x16x16_fp8_fp8 v[8:15], v[128:129], v[4:5], v[8:15]
	v_wmma_f32_16x16x16_fp8_fp8 v[8:15], v[130:131], v[6:7], v[8:15]
	scratch_load_b128 v[4:7], off, s33 offset:688
	s_clause 0x1
	flat_store_b128 v[52:53], v[8:11] offset:544
	flat_store_b128 v[52:53], v[12:15] offset:560
	s_wait_loadcnt 0x1
	v_wmma_f32_16x16x16_fp8_fp8 v[16:23], v[116:117], v[0:1], v[16:23]
	s_delay_alu instid0(VALU_DEP_1) | instskip(SKIP_3) | instid1(VALU_DEP_1)
	v_wmma_f32_16x16x16_fp8_fp8 v[16:23], v[118:119], v[2:3], v[16:23]
	scratch_load_b128 v[0:3], off, s33 offset:736
	s_wait_loadcnt 0x1
	v_wmma_f32_16x16x16_fp8_fp8 v[16:23], v[128:129], v[4:5], v[16:23]
	v_wmma_f32_16x16x16_fp8_fp8 v[16:23], v[130:131], v[6:7], v[16:23]
	scratch_load_b128 v[4:7], off, s33 offset:752
	s_clause 0x1
	flat_store_b128 v[52:53], v[20:23] offset:592
	flat_store_b128 v[52:53], v[16:19] offset:576
	s_wait_loadcnt 0x1
	v_wmma_f32_16x16x16_fp8_fp8 v[24:31], v[116:117], v[0:1], v[24:31]
	s_delay_alu instid0(VALU_DEP_1) | instskip(SKIP_1) | instid1(VALU_DEP_1)
	v_wmma_f32_16x16x16_fp8_fp8 v[24:31], v[118:119], v[2:3], v[24:31]
	s_wait_loadcnt 0x0
	v_wmma_f32_16x16x16_fp8_fp8 v[24:31], v[128:129], v[4:5], v[24:31]
	s_delay_alu instid0(VALU_DEP_1)
	v_wmma_f32_16x16x16_fp8_fp8 v[24:31], v[130:131], v[6:7], v[24:31]
	s_clause 0x1
	flat_store_b128 v[52:53], v[28:31] offset:624
	flat_store_b128 v[52:53], v[24:27] offset:608
	s_clause 0x3
	flat_load_b64 v[7:8], v[64:65] offset:1148
	flat_load_b64 v[9:10], v[64:65] offset:1164
	flat_load_b128 v[0:3], v[64:65] offset:1176
	flat_load_b96 v[4:6], v[64:65] offset:1132
	s_wait_loadcnt_dscnt 0x202
	v_sub_nc_u32_e32 v7, v7, v10
	s_wait_loadcnt_dscnt 0x101
	v_add_nc_u32_e32 v0, v9, v0
	s_wait_loadcnt_dscnt 0x0
	v_sub_nc_u32_e32 v2, v4, v2
	v_add3_u32 v1, v7, v1, 0xa0
	v_sub_nc_u32_e32 v7, v8, v9
	v_sub_nc_u32_e32 v8, v8, v0
	s_delay_alu instid0(VALU_DEP_3) | instskip(NEXT) | instid1(VALU_DEP_1)
	v_ashrrev_i32_e32 v10, 31, v1
	v_lshrrev_b32_e32 v10, 29, v10
	s_delay_alu instid0(VALU_DEP_1) | instskip(NEXT) | instid1(VALU_DEP_1)
	v_add_nc_u32_e32 v10, v1, v10
	v_and_b32_e32 v10, -8, v10
	s_delay_alu instid0(VALU_DEP_1) | instskip(SKIP_1) | instid1(VALU_DEP_2)
	v_sub_nc_u32_e32 v12, v1, v10
	v_sub_nc_u32_e32 v1, v1, v6
	v_xor_b32_e32 v7, v12, v7
	s_delay_alu instid0(VALU_DEP_2) | instskip(NEXT) | instid1(VALU_DEP_2)
	v_lshlrev_b32_e32 v1, 7, v1
	v_sub_nc_u32_e32 v6, v7, v5
	s_delay_alu instid0(VALU_DEP_2) | instskip(NEXT) | instid1(VALU_DEP_2)
	v_add_nc_u32_e32 v2, v2, v1
	v_lshlrev_b32_e32 v6, 4, v6
	s_delay_alu instid0(VALU_DEP_1)
	v_add3_u32 v10, v1, v4, v6
	flat_load_b64 v[6:7], v[54:55]
	v_ashrrev_i32_e32 v11, 31, v10
	s_wait_loadcnt_dscnt 0x0
	v_add_co_u32 v10, vcc_lo, v6, v10
	s_wait_alu 0xfffd
	s_delay_alu instid0(VALU_DEP_2) | instskip(SKIP_2) | instid1(VALU_DEP_1)
	v_add_co_ci_u32_e64 v11, null, v7, v11, vcc_lo
	flat_load_b128 v[98:101], v[10:11]
	v_add_nc_u32_e32 v10, 16, v3
	v_ashrrev_i32_e32 v11, 31, v10
	s_delay_alu instid0(VALU_DEP_1) | instskip(NEXT) | instid1(VALU_DEP_1)
	v_lshrrev_b32_e32 v11, 28, v11
	v_add_nc_u32_e32 v11, v10, v11
	s_delay_alu instid0(VALU_DEP_1) | instskip(SKIP_1) | instid1(VALU_DEP_2)
	v_lshrrev_b32_e32 v13, 4, v11
	v_and_b32_e32 v11, -16, v11
	v_add_nc_u32_e32 v0, v13, v8
	s_delay_alu instid0(VALU_DEP_2) | instskip(NEXT) | instid1(VALU_DEP_2)
	v_sub_nc_u32_e32 v10, v10, v11
	v_xor_b32_e32 v0, v0, v12
	s_delay_alu instid0(VALU_DEP_1) | instskip(NEXT) | instid1(VALU_DEP_1)
	v_sub_nc_u32_e32 v0, v0, v5
	v_lshlrev_b32_e32 v0, 4, v0
	s_delay_alu instid0(VALU_DEP_1) | instskip(NEXT) | instid1(VALU_DEP_1)
	v_add3_u32 v0, v10, v2, v0
	v_ashrrev_i32_e32 v1, 31, v0
	v_add_co_u32 v0, vcc_lo, v6, v0
	s_wait_alu 0xfffd
	s_delay_alu instid0(VALU_DEP_2) | instskip(SKIP_2) | instid1(VALU_DEP_1)
	v_add_co_ci_u32_e64 v1, null, v7, v1, vcc_lo
	flat_load_b128 v[112:115], v[0:1]
	v_add_nc_u32_e32 v0, 64, v3
	v_ashrrev_i32_e32 v1, 31, v0
	s_delay_alu instid0(VALU_DEP_1) | instskip(NEXT) | instid1(VALU_DEP_1)
	v_lshrrev_b32_e32 v1, 28, v1
	v_add_nc_u32_e32 v1, v0, v1
	s_delay_alu instid0(VALU_DEP_1) | instskip(SKIP_1) | instid1(VALU_DEP_1)
	v_lshrrev_b32_e32 v4, 4, v1
	v_and_b32_e32 v1, -16, v1
	v_sub_nc_u32_e32 v0, v0, v1
	s_delay_alu instid0(VALU_DEP_3) | instskip(NEXT) | instid1(VALU_DEP_1)
	v_add_nc_u32_e32 v1, v4, v8
	v_xor_b32_e32 v1, v1, v12
	s_delay_alu instid0(VALU_DEP_1) | instskip(NEXT) | instid1(VALU_DEP_1)
	v_sub_nc_u32_e32 v1, v1, v5
	v_lshlrev_b32_e32 v1, 4, v1
	s_delay_alu instid0(VALU_DEP_1) | instskip(NEXT) | instid1(VALU_DEP_1)
	v_add3_u32 v0, v0, v2, v1
	v_ashrrev_i32_e32 v1, 31, v0
	v_add_co_u32 v0, vcc_lo, v6, v0
	s_wait_alu 0xfffd
	s_delay_alu instid0(VALU_DEP_2) | instskip(SKIP_2) | instid1(VALU_DEP_1)
	v_add_co_ci_u32_e64 v1, null, v7, v1, vcc_lo
	flat_load_b128 v[116:119], v[0:1]
	v_add_nc_u32_e32 v0, 0x50, v3
	v_ashrrev_i32_e32 v1, 31, v0
	s_delay_alu instid0(VALU_DEP_1) | instskip(NEXT) | instid1(VALU_DEP_1)
	v_lshrrev_b32_e32 v1, 28, v1
	v_add_nc_u32_e32 v1, v0, v1
	s_delay_alu instid0(VALU_DEP_1) | instskip(SKIP_1) | instid1(VALU_DEP_1)
	v_lshrrev_b32_e32 v3, 4, v1
	v_and_b32_e32 v1, -16, v1
	v_sub_nc_u32_e32 v0, v0, v1
	s_delay_alu instid0(VALU_DEP_3) | instskip(SKIP_1) | instid1(VALU_DEP_2)
	v_add_nc_u32_e32 v1, v3, v8
	v_mov_b32_e32 v3, s1
	v_xor_b32_e32 v1, v1, v12
	s_delay_alu instid0(VALU_DEP_1) | instskip(NEXT) | instid1(VALU_DEP_1)
	v_sub_nc_u32_e32 v1, v1, v5
	v_lshlrev_b32_e32 v1, 4, v1
	s_delay_alu instid0(VALU_DEP_1) | instskip(SKIP_2) | instid1(VALU_DEP_2)
	v_add3_u32 v0, v0, v2, v1
	s_wait_alu 0xfffe
	v_mov_b32_e32 v2, s0
	v_ashrrev_i32_e32 v1, 31, v0
	v_add_co_u32 v0, vcc_lo, v6, v0
	s_wait_alu 0xfffd
	s_delay_alu instid0(VALU_DEP_2)
	v_add_co_ci_u32_e64 v1, null, v7, v1, vcc_lo
	flat_load_b128 v[128:131], v[0:1]
	v_dual_mov_b32 v0, s33 :: v_dual_mov_b32 v1, s1
	s_swappc_b64 s[30:31], s[2:3]
	; sched_group_barrier mask(0x00000008) size(8) SyncID(0)
	; sched_group_barrier mask(0x00000100) size(1) SyncID(0)
	;; [unrolled: 1-line block ×8, first 2 shown]
	; sched_barrier mask(0x00000000)
	scratch_load_b128 v[6:9], off, s33 offset:512
	flat_load_b128 v[0:3], v[52:53] offset:640
	s_clause 0x6
	scratch_load_b128 v[10:13], off, s33 offset:528
	scratch_load_b128 v[16:19], off, s33 offset:576
	;; [unrolled: 1-line block ×7, first 2 shown]
	s_add_co_i32 s0, s33, 0x200
	s_wait_loadcnt 0x8
	v_perm_b32 v15, v7, v7, 0x3020104
	v_perm_b32 v14, v6, v6, 0x3020504
	flat_load_b128 v[4:7], v[52:53] offset:656
	s_wait_loadcnt_dscnt 0x0
	v_wmma_f32_16x16x16_fp8_fp8 v[0:7], v[98:99], v[14:15], v[0:7]
	s_delay_alu instid0(VALU_DEP_1) | instskip(NEXT) | instid1(VALU_DEP_1)
	v_wmma_f32_16x16x16_fp8_fp8 v[0:7], v[100:101], v[8:9], v[0:7]
	v_wmma_f32_16x16x16_fp8_fp8 v[0:7], v[112:113], v[10:11], v[0:7]
	flat_load_b128 v[8:11], v[52:53] offset:672
	v_wmma_f32_16x16x16_fp8_fp8 v[0:7], v[114:115], v[12:13], v[0:7]
	flat_load_b128 v[12:15], v[52:53] offset:688
	s_wait_loadcnt_dscnt 0x0
	v_wmma_f32_16x16x16_fp8_fp8 v[8:15], v[98:99], v[16:17], v[8:15]
	s_delay_alu instid0(VALU_DEP_1) | instskip(SKIP_2) | instid1(VALU_DEP_1)
	v_wmma_f32_16x16x16_fp8_fp8 v[8:15], v[100:101], v[18:19], v[8:15]
	flat_load_b128 v[16:19], v[52:53] offset:704
	v_wmma_f32_16x16x16_fp8_fp8 v[8:15], v[112:113], v[20:21], v[8:15]
	v_wmma_f32_16x16x16_fp8_fp8 v[8:15], v[114:115], v[22:23], v[8:15]
	flat_load_b128 v[20:23], v[52:53] offset:720
	s_wait_loadcnt_dscnt 0x0
	v_wmma_f32_16x16x16_fp8_fp8 v[16:23], v[98:99], v[24:25], v[16:23]
	s_delay_alu instid0(VALU_DEP_1) | instskip(SKIP_2) | instid1(VALU_DEP_1)
	v_wmma_f32_16x16x16_fp8_fp8 v[16:23], v[100:101], v[26:27], v[16:23]
	flat_load_b128 v[24:27], v[52:53] offset:736
	v_wmma_f32_16x16x16_fp8_fp8 v[16:23], v[112:113], v[28:29], v[16:23]
	v_wmma_f32_16x16x16_fp8_fp8 v[16:23], v[114:115], v[30:31], v[16:23]
	flat_load_b128 v[28:31], v[52:53] offset:752
	s_wait_loadcnt_dscnt 0x0
	v_wmma_f32_16x16x16_fp8_fp8 v[24:31], v[98:99], v[32:33], v[24:31]
	s_delay_alu instid0(VALU_DEP_1) | instskip(SKIP_2) | instid1(VALU_DEP_1)
	v_wmma_f32_16x16x16_fp8_fp8 v[24:31], v[100:101], v[34:35], v[24:31]
	scratch_load_b128 v[32:35], off, s33 offset:544
	v_wmma_f32_16x16x16_fp8_fp8 v[24:31], v[112:113], v[36:37], v[24:31]
	v_wmma_f32_16x16x16_fp8_fp8 v[24:31], v[114:115], v[38:39], v[24:31]
	scratch_load_b128 v[36:39], off, s33 offset:560
	s_wait_loadcnt 0x1
	v_wmma_f32_16x16x16_fp8_fp8 v[0:7], v[116:117], v[32:33], v[0:7]
	s_delay_alu instid0(VALU_DEP_1) | instskip(SKIP_1) | instid1(VALU_DEP_1)
	v_wmma_f32_16x16x16_fp8_fp8 v[0:7], v[118:119], v[34:35], v[0:7]
	s_wait_loadcnt 0x0
	v_wmma_f32_16x16x16_fp8_fp8 v[0:7], v[128:129], v[36:37], v[0:7]
	s_delay_alu instid0(VALU_DEP_1)
	v_wmma_f32_16x16x16_fp8_fp8 v[0:7], v[130:131], v[38:39], v[0:7]
	flat_store_b128 v[52:53], v[0:3] offset:640
	scratch_load_b128 v[0:3], off, s33 offset:608
	flat_store_b128 v[52:53], v[4:7] offset:656
	scratch_load_b128 v[4:7], off, s33 offset:624
	s_wait_loadcnt 0x1
	v_nop
	v_wmma_f32_16x16x16_fp8_fp8 v[8:15], v[116:117], v[0:1], v[8:15]
	s_delay_alu instid0(VALU_DEP_1) | instskip(SKIP_3) | instid1(VALU_DEP_1)
	v_wmma_f32_16x16x16_fp8_fp8 v[8:15], v[118:119], v[2:3], v[8:15]
	scratch_load_b128 v[0:3], off, s33 offset:672
	s_wait_loadcnt 0x1
	v_wmma_f32_16x16x16_fp8_fp8 v[8:15], v[128:129], v[4:5], v[8:15]
	v_wmma_f32_16x16x16_fp8_fp8 v[8:15], v[130:131], v[6:7], v[8:15]
	scratch_load_b128 v[4:7], off, s33 offset:688
	s_clause 0x1
	flat_store_b128 v[52:53], v[8:11] offset:672
	flat_store_b128 v[52:53], v[12:15] offset:688
	s_wait_loadcnt 0x1
	v_wmma_f32_16x16x16_fp8_fp8 v[16:23], v[116:117], v[0:1], v[16:23]
	s_delay_alu instid0(VALU_DEP_1) | instskip(SKIP_3) | instid1(VALU_DEP_1)
	v_wmma_f32_16x16x16_fp8_fp8 v[16:23], v[118:119], v[2:3], v[16:23]
	scratch_load_b128 v[0:3], off, s33 offset:736
	s_wait_loadcnt 0x1
	v_wmma_f32_16x16x16_fp8_fp8 v[16:23], v[128:129], v[4:5], v[16:23]
	v_wmma_f32_16x16x16_fp8_fp8 v[16:23], v[130:131], v[6:7], v[16:23]
	scratch_load_b128 v[4:7], off, s33 offset:752
	s_clause 0x1
	flat_store_b128 v[52:53], v[20:23] offset:720
	flat_store_b128 v[52:53], v[16:19] offset:704
	s_wait_loadcnt 0x1
	v_wmma_f32_16x16x16_fp8_fp8 v[24:31], v[116:117], v[0:1], v[24:31]
	s_delay_alu instid0(VALU_DEP_1) | instskip(SKIP_1) | instid1(VALU_DEP_1)
	v_wmma_f32_16x16x16_fp8_fp8 v[24:31], v[118:119], v[2:3], v[24:31]
	s_wait_loadcnt 0x0
	v_wmma_f32_16x16x16_fp8_fp8 v[24:31], v[128:129], v[4:5], v[24:31]
	s_delay_alu instid0(VALU_DEP_1)
	v_wmma_f32_16x16x16_fp8_fp8 v[24:31], v[130:131], v[6:7], v[24:31]
	s_clause 0x1
	flat_store_b128 v[52:53], v[28:31] offset:752
	flat_store_b128 v[52:53], v[24:27] offset:736
	s_clause 0x3
	flat_load_b64 v[7:8], v[64:65] offset:1148
	flat_load_b64 v[9:10], v[64:65] offset:1164
	flat_load_b128 v[0:3], v[64:65] offset:1176
	flat_load_b96 v[4:6], v[64:65] offset:1132
	s_wait_loadcnt_dscnt 0x202
	v_sub_nc_u32_e32 v7, v7, v10
	s_wait_loadcnt_dscnt 0x101
	v_add_nc_u32_e32 v0, v9, v0
	s_wait_loadcnt_dscnt 0x0
	v_sub_nc_u32_e32 v2, v4, v2
	v_add3_u32 v1, v7, v1, 0xc0
	v_sub_nc_u32_e32 v7, v8, v9
	v_sub_nc_u32_e32 v8, v8, v0
	s_delay_alu instid0(VALU_DEP_3) | instskip(NEXT) | instid1(VALU_DEP_1)
	v_ashrrev_i32_e32 v10, 31, v1
	v_lshrrev_b32_e32 v10, 29, v10
	s_delay_alu instid0(VALU_DEP_1) | instskip(NEXT) | instid1(VALU_DEP_1)
	v_add_nc_u32_e32 v10, v1, v10
	v_and_b32_e32 v10, -8, v10
	s_delay_alu instid0(VALU_DEP_1) | instskip(SKIP_1) | instid1(VALU_DEP_2)
	v_sub_nc_u32_e32 v12, v1, v10
	v_sub_nc_u32_e32 v1, v1, v6
	v_xor_b32_e32 v7, v12, v7
	s_delay_alu instid0(VALU_DEP_2) | instskip(NEXT) | instid1(VALU_DEP_2)
	v_lshlrev_b32_e32 v1, 7, v1
	v_sub_nc_u32_e32 v6, v7, v5
	s_delay_alu instid0(VALU_DEP_2) | instskip(NEXT) | instid1(VALU_DEP_2)
	v_add_nc_u32_e32 v2, v2, v1
	v_lshlrev_b32_e32 v6, 4, v6
	s_delay_alu instid0(VALU_DEP_1)
	v_add3_u32 v10, v1, v4, v6
	flat_load_b64 v[6:7], v[54:55]
	v_ashrrev_i32_e32 v11, 31, v10
	s_wait_loadcnt_dscnt 0x0
	v_add_co_u32 v10, vcc_lo, v6, v10
	s_wait_alu 0xfffd
	s_delay_alu instid0(VALU_DEP_2) | instskip(SKIP_2) | instid1(VALU_DEP_1)
	v_add_co_ci_u32_e64 v11, null, v7, v11, vcc_lo
	flat_load_b128 v[98:101], v[10:11]
	v_add_nc_u32_e32 v10, 16, v3
	v_ashrrev_i32_e32 v11, 31, v10
	s_delay_alu instid0(VALU_DEP_1) | instskip(NEXT) | instid1(VALU_DEP_1)
	v_lshrrev_b32_e32 v11, 28, v11
	v_add_nc_u32_e32 v11, v10, v11
	s_delay_alu instid0(VALU_DEP_1) | instskip(SKIP_1) | instid1(VALU_DEP_2)
	v_lshrrev_b32_e32 v13, 4, v11
	v_and_b32_e32 v11, -16, v11
	v_add_nc_u32_e32 v0, v13, v8
	s_delay_alu instid0(VALU_DEP_2) | instskip(NEXT) | instid1(VALU_DEP_2)
	v_sub_nc_u32_e32 v10, v10, v11
	v_xor_b32_e32 v0, v0, v12
	s_delay_alu instid0(VALU_DEP_1) | instskip(NEXT) | instid1(VALU_DEP_1)
	v_sub_nc_u32_e32 v0, v0, v5
	v_lshlrev_b32_e32 v0, 4, v0
	s_delay_alu instid0(VALU_DEP_1) | instskip(NEXT) | instid1(VALU_DEP_1)
	v_add3_u32 v0, v10, v2, v0
	v_ashrrev_i32_e32 v1, 31, v0
	v_add_co_u32 v0, vcc_lo, v6, v0
	s_wait_alu 0xfffd
	s_delay_alu instid0(VALU_DEP_2) | instskip(SKIP_2) | instid1(VALU_DEP_1)
	v_add_co_ci_u32_e64 v1, null, v7, v1, vcc_lo
	flat_load_b128 v[112:115], v[0:1]
	v_add_nc_u32_e32 v0, 64, v3
	v_ashrrev_i32_e32 v1, 31, v0
	s_delay_alu instid0(VALU_DEP_1) | instskip(NEXT) | instid1(VALU_DEP_1)
	v_lshrrev_b32_e32 v1, 28, v1
	v_add_nc_u32_e32 v1, v0, v1
	s_delay_alu instid0(VALU_DEP_1) | instskip(SKIP_1) | instid1(VALU_DEP_1)
	v_lshrrev_b32_e32 v4, 4, v1
	v_and_b32_e32 v1, -16, v1
	v_sub_nc_u32_e32 v0, v0, v1
	s_delay_alu instid0(VALU_DEP_3) | instskip(NEXT) | instid1(VALU_DEP_1)
	v_add_nc_u32_e32 v1, v4, v8
	v_xor_b32_e32 v1, v1, v12
	s_delay_alu instid0(VALU_DEP_1) | instskip(NEXT) | instid1(VALU_DEP_1)
	v_sub_nc_u32_e32 v1, v1, v5
	v_lshlrev_b32_e32 v1, 4, v1
	s_delay_alu instid0(VALU_DEP_1) | instskip(NEXT) | instid1(VALU_DEP_1)
	v_add3_u32 v0, v0, v2, v1
	v_ashrrev_i32_e32 v1, 31, v0
	v_add_co_u32 v0, vcc_lo, v6, v0
	s_wait_alu 0xfffd
	s_delay_alu instid0(VALU_DEP_2) | instskip(SKIP_2) | instid1(VALU_DEP_1)
	v_add_co_ci_u32_e64 v1, null, v7, v1, vcc_lo
	flat_load_b128 v[116:119], v[0:1]
	v_add_nc_u32_e32 v0, 0x50, v3
	v_ashrrev_i32_e32 v1, 31, v0
	s_delay_alu instid0(VALU_DEP_1) | instskip(NEXT) | instid1(VALU_DEP_1)
	v_lshrrev_b32_e32 v1, 28, v1
	v_add_nc_u32_e32 v1, v0, v1
	s_delay_alu instid0(VALU_DEP_1) | instskip(SKIP_1) | instid1(VALU_DEP_1)
	v_lshrrev_b32_e32 v3, 4, v1
	v_and_b32_e32 v1, -16, v1
	v_sub_nc_u32_e32 v0, v0, v1
	s_delay_alu instid0(VALU_DEP_3) | instskip(SKIP_1) | instid1(VALU_DEP_2)
	v_add_nc_u32_e32 v1, v3, v8
	v_mov_b32_e32 v3, s1
	v_xor_b32_e32 v1, v1, v12
	s_delay_alu instid0(VALU_DEP_1) | instskip(NEXT) | instid1(VALU_DEP_1)
	v_sub_nc_u32_e32 v1, v1, v5
	v_lshlrev_b32_e32 v1, 4, v1
	s_delay_alu instid0(VALU_DEP_1) | instskip(SKIP_2) | instid1(VALU_DEP_2)
	v_add3_u32 v0, v0, v2, v1
	s_wait_alu 0xfffe
	v_mov_b32_e32 v2, s0
	v_ashrrev_i32_e32 v1, 31, v0
	v_add_co_u32 v0, vcc_lo, v6, v0
	s_wait_alu 0xfffd
	s_delay_alu instid0(VALU_DEP_2)
	v_add_co_ci_u32_e64 v1, null, v7, v1, vcc_lo
	flat_load_b128 v[128:131], v[0:1]
	v_dual_mov_b32 v0, s33 :: v_dual_mov_b32 v1, s1
	s_swappc_b64 s[30:31], s[2:3]
	; sched_group_barrier mask(0x00000008) size(8) SyncID(0)
	; sched_group_barrier mask(0x00000100) size(1) SyncID(0)
	; sched_group_barrier mask(0x00000008) size(8) SyncID(0)
	; sched_group_barrier mask(0x00000100) size(1) SyncID(0)
	; sched_group_barrier mask(0x00000008) size(8) SyncID(0)
	; sched_group_barrier mask(0x00000100) size(1) SyncID(0)
	; sched_group_barrier mask(0x00000008) size(8) SyncID(0)
	; sched_group_barrier mask(0x00000100) size(1) SyncID(0)
	; sched_barrier mask(0x00000000)
	scratch_load_b128 v[6:9], off, s33 offset:512
	flat_load_b128 v[0:3], v[52:53] offset:768
	s_clause 0x6
	scratch_load_b128 v[10:13], off, s33 offset:528
	scratch_load_b128 v[16:19], off, s33 offset:576
	;; [unrolled: 1-line block ×7, first 2 shown]
	s_add_co_i32 s0, s33, 0x200
	s_wait_loadcnt 0x8
	v_perm_b32 v15, v7, v7, 0x3020104
	v_perm_b32 v14, v6, v6, 0x3020504
	flat_load_b128 v[4:7], v[52:53] offset:784
	s_wait_loadcnt_dscnt 0x0
	v_wmma_f32_16x16x16_fp8_fp8 v[0:7], v[98:99], v[14:15], v[0:7]
	s_delay_alu instid0(VALU_DEP_1) | instskip(NEXT) | instid1(VALU_DEP_1)
	v_wmma_f32_16x16x16_fp8_fp8 v[0:7], v[100:101], v[8:9], v[0:7]
	v_wmma_f32_16x16x16_fp8_fp8 v[0:7], v[112:113], v[10:11], v[0:7]
	flat_load_b128 v[8:11], v[52:53] offset:800
	v_wmma_f32_16x16x16_fp8_fp8 v[0:7], v[114:115], v[12:13], v[0:7]
	flat_load_b128 v[12:15], v[52:53] offset:816
	s_wait_loadcnt_dscnt 0x0
	v_wmma_f32_16x16x16_fp8_fp8 v[8:15], v[98:99], v[16:17], v[8:15]
	s_delay_alu instid0(VALU_DEP_1) | instskip(SKIP_2) | instid1(VALU_DEP_1)
	v_wmma_f32_16x16x16_fp8_fp8 v[8:15], v[100:101], v[18:19], v[8:15]
	flat_load_b128 v[16:19], v[52:53] offset:832
	v_wmma_f32_16x16x16_fp8_fp8 v[8:15], v[112:113], v[20:21], v[8:15]
	v_wmma_f32_16x16x16_fp8_fp8 v[8:15], v[114:115], v[22:23], v[8:15]
	flat_load_b128 v[20:23], v[52:53] offset:848
	s_wait_loadcnt_dscnt 0x0
	v_wmma_f32_16x16x16_fp8_fp8 v[16:23], v[98:99], v[24:25], v[16:23]
	s_delay_alu instid0(VALU_DEP_1) | instskip(SKIP_2) | instid1(VALU_DEP_1)
	v_wmma_f32_16x16x16_fp8_fp8 v[16:23], v[100:101], v[26:27], v[16:23]
	flat_load_b128 v[24:27], v[52:53] offset:864
	v_wmma_f32_16x16x16_fp8_fp8 v[16:23], v[112:113], v[28:29], v[16:23]
	v_wmma_f32_16x16x16_fp8_fp8 v[16:23], v[114:115], v[30:31], v[16:23]
	flat_load_b128 v[28:31], v[52:53] offset:880
	s_wait_loadcnt_dscnt 0x0
	v_wmma_f32_16x16x16_fp8_fp8 v[24:31], v[98:99], v[32:33], v[24:31]
	s_delay_alu instid0(VALU_DEP_1) | instskip(SKIP_2) | instid1(VALU_DEP_1)
	v_wmma_f32_16x16x16_fp8_fp8 v[24:31], v[100:101], v[34:35], v[24:31]
	scratch_load_b128 v[32:35], off, s33 offset:544
	v_wmma_f32_16x16x16_fp8_fp8 v[24:31], v[112:113], v[36:37], v[24:31]
	v_wmma_f32_16x16x16_fp8_fp8 v[24:31], v[114:115], v[38:39], v[24:31]
	scratch_load_b128 v[36:39], off, s33 offset:560
	s_wait_loadcnt 0x1
	v_wmma_f32_16x16x16_fp8_fp8 v[0:7], v[116:117], v[32:33], v[0:7]
	s_delay_alu instid0(VALU_DEP_1) | instskip(SKIP_1) | instid1(VALU_DEP_1)
	v_wmma_f32_16x16x16_fp8_fp8 v[0:7], v[118:119], v[34:35], v[0:7]
	s_wait_loadcnt 0x0
	v_wmma_f32_16x16x16_fp8_fp8 v[0:7], v[128:129], v[36:37], v[0:7]
	s_delay_alu instid0(VALU_DEP_1)
	v_wmma_f32_16x16x16_fp8_fp8 v[0:7], v[130:131], v[38:39], v[0:7]
	flat_store_b128 v[52:53], v[0:3] offset:768
	scratch_load_b128 v[0:3], off, s33 offset:608
	flat_store_b128 v[52:53], v[4:7] offset:784
	scratch_load_b128 v[4:7], off, s33 offset:624
	s_wait_loadcnt 0x1
	v_nop
	v_wmma_f32_16x16x16_fp8_fp8 v[8:15], v[116:117], v[0:1], v[8:15]
	s_delay_alu instid0(VALU_DEP_1) | instskip(SKIP_3) | instid1(VALU_DEP_1)
	v_wmma_f32_16x16x16_fp8_fp8 v[8:15], v[118:119], v[2:3], v[8:15]
	scratch_load_b128 v[0:3], off, s33 offset:672
	s_wait_loadcnt 0x1
	v_wmma_f32_16x16x16_fp8_fp8 v[8:15], v[128:129], v[4:5], v[8:15]
	v_wmma_f32_16x16x16_fp8_fp8 v[8:15], v[130:131], v[6:7], v[8:15]
	scratch_load_b128 v[4:7], off, s33 offset:688
	s_clause 0x1
	flat_store_b128 v[52:53], v[8:11] offset:800
	flat_store_b128 v[52:53], v[12:15] offset:816
	s_wait_loadcnt 0x1
	v_wmma_f32_16x16x16_fp8_fp8 v[16:23], v[116:117], v[0:1], v[16:23]
	s_delay_alu instid0(VALU_DEP_1) | instskip(SKIP_3) | instid1(VALU_DEP_1)
	v_wmma_f32_16x16x16_fp8_fp8 v[16:23], v[118:119], v[2:3], v[16:23]
	scratch_load_b128 v[0:3], off, s33 offset:736
	s_wait_loadcnt 0x1
	v_wmma_f32_16x16x16_fp8_fp8 v[16:23], v[128:129], v[4:5], v[16:23]
	v_wmma_f32_16x16x16_fp8_fp8 v[16:23], v[130:131], v[6:7], v[16:23]
	scratch_load_b128 v[4:7], off, s33 offset:752
	s_clause 0x1
	flat_store_b128 v[52:53], v[20:23] offset:848
	flat_store_b128 v[52:53], v[16:19] offset:832
	s_wait_loadcnt 0x1
	v_wmma_f32_16x16x16_fp8_fp8 v[24:31], v[116:117], v[0:1], v[24:31]
	s_delay_alu instid0(VALU_DEP_1) | instskip(SKIP_1) | instid1(VALU_DEP_1)
	v_wmma_f32_16x16x16_fp8_fp8 v[24:31], v[118:119], v[2:3], v[24:31]
	s_wait_loadcnt 0x0
	v_wmma_f32_16x16x16_fp8_fp8 v[24:31], v[128:129], v[4:5], v[24:31]
	s_delay_alu instid0(VALU_DEP_1)
	v_wmma_f32_16x16x16_fp8_fp8 v[24:31], v[130:131], v[6:7], v[24:31]
	s_clause 0x1
	flat_store_b128 v[52:53], v[28:31] offset:880
	flat_store_b128 v[52:53], v[24:27] offset:864
	s_clause 0x3
	flat_load_b64 v[7:8], v[64:65] offset:1148
	flat_load_b64 v[9:10], v[64:65] offset:1164
	flat_load_b128 v[0:3], v[64:65] offset:1176
	flat_load_b96 v[4:6], v[64:65] offset:1132
	s_wait_loadcnt_dscnt 0x202
	v_sub_nc_u32_e32 v7, v7, v10
	s_wait_loadcnt_dscnt 0x101
	v_add_nc_u32_e32 v0, v9, v0
	s_wait_loadcnt_dscnt 0x0
	v_sub_nc_u32_e32 v2, v4, v2
	v_add3_u32 v1, v7, v1, 0xe0
	v_sub_nc_u32_e32 v7, v8, v9
	v_sub_nc_u32_e32 v8, v8, v0
	s_delay_alu instid0(VALU_DEP_3) | instskip(NEXT) | instid1(VALU_DEP_1)
	v_ashrrev_i32_e32 v10, 31, v1
	v_lshrrev_b32_e32 v10, 29, v10
	s_delay_alu instid0(VALU_DEP_1) | instskip(NEXT) | instid1(VALU_DEP_1)
	v_add_nc_u32_e32 v10, v1, v10
	v_and_b32_e32 v10, -8, v10
	s_delay_alu instid0(VALU_DEP_1) | instskip(SKIP_1) | instid1(VALU_DEP_2)
	v_sub_nc_u32_e32 v12, v1, v10
	v_sub_nc_u32_e32 v1, v1, v6
	v_xor_b32_e32 v7, v12, v7
	s_delay_alu instid0(VALU_DEP_2) | instskip(NEXT) | instid1(VALU_DEP_2)
	v_lshlrev_b32_e32 v1, 7, v1
	v_sub_nc_u32_e32 v6, v7, v5
	s_delay_alu instid0(VALU_DEP_2) | instskip(NEXT) | instid1(VALU_DEP_2)
	v_add_nc_u32_e32 v2, v2, v1
	v_lshlrev_b32_e32 v6, 4, v6
	s_delay_alu instid0(VALU_DEP_1)
	v_add3_u32 v10, v1, v4, v6
	flat_load_b64 v[6:7], v[54:55]
	v_ashrrev_i32_e32 v11, 31, v10
	s_wait_loadcnt_dscnt 0x0
	v_add_co_u32 v10, vcc_lo, v6, v10
	s_wait_alu 0xfffd
	s_delay_alu instid0(VALU_DEP_2) | instskip(SKIP_2) | instid1(VALU_DEP_1)
	v_add_co_ci_u32_e64 v11, null, v7, v11, vcc_lo
	flat_load_b128 v[98:101], v[10:11]
	v_add_nc_u32_e32 v10, 16, v3
	v_ashrrev_i32_e32 v11, 31, v10
	s_delay_alu instid0(VALU_DEP_1) | instskip(NEXT) | instid1(VALU_DEP_1)
	v_lshrrev_b32_e32 v11, 28, v11
	v_add_nc_u32_e32 v11, v10, v11
	s_delay_alu instid0(VALU_DEP_1) | instskip(SKIP_1) | instid1(VALU_DEP_2)
	v_lshrrev_b32_e32 v13, 4, v11
	v_and_b32_e32 v11, -16, v11
	v_add_nc_u32_e32 v0, v13, v8
	s_delay_alu instid0(VALU_DEP_2) | instskip(NEXT) | instid1(VALU_DEP_2)
	v_sub_nc_u32_e32 v10, v10, v11
	v_xor_b32_e32 v0, v0, v12
	s_delay_alu instid0(VALU_DEP_1) | instskip(NEXT) | instid1(VALU_DEP_1)
	v_sub_nc_u32_e32 v0, v0, v5
	v_lshlrev_b32_e32 v0, 4, v0
	s_delay_alu instid0(VALU_DEP_1) | instskip(NEXT) | instid1(VALU_DEP_1)
	v_add3_u32 v0, v10, v2, v0
	v_ashrrev_i32_e32 v1, 31, v0
	v_add_co_u32 v0, vcc_lo, v6, v0
	s_wait_alu 0xfffd
	s_delay_alu instid0(VALU_DEP_2) | instskip(SKIP_2) | instid1(VALU_DEP_1)
	v_add_co_ci_u32_e64 v1, null, v7, v1, vcc_lo
	flat_load_b128 v[112:115], v[0:1]
	v_add_nc_u32_e32 v0, 64, v3
	v_ashrrev_i32_e32 v1, 31, v0
	s_delay_alu instid0(VALU_DEP_1) | instskip(NEXT) | instid1(VALU_DEP_1)
	v_lshrrev_b32_e32 v1, 28, v1
	v_add_nc_u32_e32 v1, v0, v1
	s_delay_alu instid0(VALU_DEP_1) | instskip(SKIP_1) | instid1(VALU_DEP_1)
	v_lshrrev_b32_e32 v4, 4, v1
	v_and_b32_e32 v1, -16, v1
	v_sub_nc_u32_e32 v0, v0, v1
	s_delay_alu instid0(VALU_DEP_3) | instskip(NEXT) | instid1(VALU_DEP_1)
	v_add_nc_u32_e32 v1, v4, v8
	v_xor_b32_e32 v1, v1, v12
	s_delay_alu instid0(VALU_DEP_1) | instskip(NEXT) | instid1(VALU_DEP_1)
	v_sub_nc_u32_e32 v1, v1, v5
	v_lshlrev_b32_e32 v1, 4, v1
	s_delay_alu instid0(VALU_DEP_1) | instskip(NEXT) | instid1(VALU_DEP_1)
	v_add3_u32 v0, v0, v2, v1
	v_ashrrev_i32_e32 v1, 31, v0
	v_add_co_u32 v0, vcc_lo, v6, v0
	s_wait_alu 0xfffd
	s_delay_alu instid0(VALU_DEP_2) | instskip(SKIP_2) | instid1(VALU_DEP_1)
	v_add_co_ci_u32_e64 v1, null, v7, v1, vcc_lo
	flat_load_b128 v[116:119], v[0:1]
	v_add_nc_u32_e32 v0, 0x50, v3
	v_ashrrev_i32_e32 v1, 31, v0
	s_delay_alu instid0(VALU_DEP_1) | instskip(NEXT) | instid1(VALU_DEP_1)
	v_lshrrev_b32_e32 v1, 28, v1
	v_add_nc_u32_e32 v1, v0, v1
	s_delay_alu instid0(VALU_DEP_1) | instskip(SKIP_1) | instid1(VALU_DEP_1)
	v_lshrrev_b32_e32 v3, 4, v1
	v_and_b32_e32 v1, -16, v1
	v_sub_nc_u32_e32 v0, v0, v1
	s_delay_alu instid0(VALU_DEP_3) | instskip(SKIP_1) | instid1(VALU_DEP_2)
	v_add_nc_u32_e32 v1, v3, v8
	v_mov_b32_e32 v3, s1
	v_xor_b32_e32 v1, v1, v12
	s_delay_alu instid0(VALU_DEP_1) | instskip(NEXT) | instid1(VALU_DEP_1)
	v_sub_nc_u32_e32 v1, v1, v5
	v_lshlrev_b32_e32 v1, 4, v1
	s_delay_alu instid0(VALU_DEP_1) | instskip(SKIP_2) | instid1(VALU_DEP_2)
	v_add3_u32 v0, v0, v2, v1
	s_wait_alu 0xfffe
	v_mov_b32_e32 v2, s0
	v_ashrrev_i32_e32 v1, 31, v0
	v_add_co_u32 v0, vcc_lo, v6, v0
	s_wait_alu 0xfffd
	s_delay_alu instid0(VALU_DEP_2)
	v_add_co_ci_u32_e64 v1, null, v7, v1, vcc_lo
	flat_load_b128 v[128:131], v[0:1]
	v_dual_mov_b32 v0, s33 :: v_dual_mov_b32 v1, s1
	s_swappc_b64 s[30:31], s[2:3]
	; sched_group_barrier mask(0x00000008) size(8) SyncID(0)
	; sched_group_barrier mask(0x00000100) size(1) SyncID(0)
	;; [unrolled: 1-line block ×8, first 2 shown]
	; sched_barrier mask(0x00000000)
	scratch_load_b128 v[6:9], off, s33 offset:512
	flat_load_b128 v[0:3], v[52:53] offset:896
	s_clause 0x6
	scratch_load_b128 v[10:13], off, s33 offset:528
	scratch_load_b128 v[16:19], off, s33 offset:576
	;; [unrolled: 1-line block ×7, first 2 shown]
	s_wait_loadcnt 0x8
	v_perm_b32 v15, v7, v7, 0x3020104
	v_perm_b32 v14, v6, v6, 0x3020504
	flat_load_b128 v[4:7], v[52:53] offset:912
	s_wait_loadcnt_dscnt 0x0
	v_wmma_f32_16x16x16_fp8_fp8 v[0:7], v[98:99], v[14:15], v[0:7]
	s_delay_alu instid0(VALU_DEP_1) | instskip(NEXT) | instid1(VALU_DEP_1)
	v_wmma_f32_16x16x16_fp8_fp8 v[0:7], v[100:101], v[8:9], v[0:7]
	v_wmma_f32_16x16x16_fp8_fp8 v[0:7], v[112:113], v[10:11], v[0:7]
	flat_load_b128 v[8:11], v[52:53] offset:928
	v_wmma_f32_16x16x16_fp8_fp8 v[0:7], v[114:115], v[12:13], v[0:7]
	flat_load_b128 v[12:15], v[52:53] offset:944
	s_wait_loadcnt_dscnt 0x0
	v_wmma_f32_16x16x16_fp8_fp8 v[8:15], v[98:99], v[16:17], v[8:15]
	s_delay_alu instid0(VALU_DEP_1) | instskip(SKIP_2) | instid1(VALU_DEP_1)
	v_wmma_f32_16x16x16_fp8_fp8 v[8:15], v[100:101], v[18:19], v[8:15]
	flat_load_b128 v[16:19], v[52:53] offset:960
	v_wmma_f32_16x16x16_fp8_fp8 v[8:15], v[112:113], v[20:21], v[8:15]
	v_wmma_f32_16x16x16_fp8_fp8 v[8:15], v[114:115], v[22:23], v[8:15]
	flat_load_b128 v[20:23], v[52:53] offset:976
	s_wait_loadcnt_dscnt 0x0
	v_wmma_f32_16x16x16_fp8_fp8 v[16:23], v[98:99], v[24:25], v[16:23]
	s_delay_alu instid0(VALU_DEP_1) | instskip(SKIP_2) | instid1(VALU_DEP_1)
	v_wmma_f32_16x16x16_fp8_fp8 v[16:23], v[100:101], v[26:27], v[16:23]
	flat_load_b128 v[24:27], v[52:53] offset:992
	v_wmma_f32_16x16x16_fp8_fp8 v[16:23], v[112:113], v[28:29], v[16:23]
	v_wmma_f32_16x16x16_fp8_fp8 v[16:23], v[114:115], v[30:31], v[16:23]
	flat_load_b128 v[28:31], v[52:53] offset:1008
	s_wait_loadcnt_dscnt 0x0
	v_wmma_f32_16x16x16_fp8_fp8 v[24:31], v[98:99], v[32:33], v[24:31]
	s_delay_alu instid0(VALU_DEP_1) | instskip(SKIP_2) | instid1(VALU_DEP_1)
	v_wmma_f32_16x16x16_fp8_fp8 v[24:31], v[100:101], v[34:35], v[24:31]
	scratch_load_b128 v[32:35], off, s33 offset:544
	v_wmma_f32_16x16x16_fp8_fp8 v[24:31], v[112:113], v[36:37], v[24:31]
	v_wmma_f32_16x16x16_fp8_fp8 v[24:31], v[114:115], v[38:39], v[24:31]
	scratch_load_b128 v[36:39], off, s33 offset:560
	s_wait_loadcnt 0x1
	v_wmma_f32_16x16x16_fp8_fp8 v[0:7], v[116:117], v[32:33], v[0:7]
	s_delay_alu instid0(VALU_DEP_1) | instskip(SKIP_1) | instid1(VALU_DEP_1)
	v_wmma_f32_16x16x16_fp8_fp8 v[0:7], v[118:119], v[34:35], v[0:7]
	s_wait_loadcnt 0x0
	v_wmma_f32_16x16x16_fp8_fp8 v[0:7], v[128:129], v[36:37], v[0:7]
	s_delay_alu instid0(VALU_DEP_1)
	v_wmma_f32_16x16x16_fp8_fp8 v[0:7], v[130:131], v[38:39], v[0:7]
	flat_store_b128 v[52:53], v[0:3] offset:896
	scratch_load_b128 v[0:3], off, s33 offset:608
	flat_store_b128 v[52:53], v[4:7] offset:912
	scratch_load_b128 v[4:7], off, s33 offset:624
	s_wait_loadcnt 0x1
	v_nop
	v_wmma_f32_16x16x16_fp8_fp8 v[8:15], v[116:117], v[0:1], v[8:15]
	s_delay_alu instid0(VALU_DEP_1) | instskip(SKIP_3) | instid1(VALU_DEP_1)
	v_wmma_f32_16x16x16_fp8_fp8 v[8:15], v[118:119], v[2:3], v[8:15]
	scratch_load_b128 v[0:3], off, s33 offset:672
	s_wait_loadcnt 0x1
	v_wmma_f32_16x16x16_fp8_fp8 v[8:15], v[128:129], v[4:5], v[8:15]
	v_wmma_f32_16x16x16_fp8_fp8 v[8:15], v[130:131], v[6:7], v[8:15]
	scratch_load_b128 v[4:7], off, s33 offset:688
	s_clause 0x1
	flat_store_b128 v[52:53], v[8:11] offset:928
	flat_store_b128 v[52:53], v[12:15] offset:944
	s_wait_loadcnt 0x1
	v_wmma_f32_16x16x16_fp8_fp8 v[16:23], v[116:117], v[0:1], v[16:23]
	s_delay_alu instid0(VALU_DEP_1) | instskip(SKIP_3) | instid1(VALU_DEP_1)
	v_wmma_f32_16x16x16_fp8_fp8 v[16:23], v[118:119], v[2:3], v[16:23]
	scratch_load_b128 v[0:3], off, s33 offset:736
	s_wait_loadcnt 0x1
	v_wmma_f32_16x16x16_fp8_fp8 v[16:23], v[128:129], v[4:5], v[16:23]
	v_wmma_f32_16x16x16_fp8_fp8 v[16:23], v[130:131], v[6:7], v[16:23]
	scratch_load_b128 v[4:7], off, s33 offset:752
	s_clause 0x1
	flat_store_b128 v[52:53], v[20:23] offset:976
	flat_store_b128 v[52:53], v[16:19] offset:960
	s_wait_loadcnt 0x1
	v_wmma_f32_16x16x16_fp8_fp8 v[24:31], v[116:117], v[0:1], v[24:31]
	s_delay_alu instid0(VALU_DEP_1) | instskip(SKIP_1) | instid1(VALU_DEP_1)
	v_wmma_f32_16x16x16_fp8_fp8 v[24:31], v[118:119], v[2:3], v[24:31]
	s_wait_loadcnt 0x0
	v_wmma_f32_16x16x16_fp8_fp8 v[24:31], v[128:129], v[4:5], v[24:31]
	s_delay_alu instid0(VALU_DEP_1)
	v_wmma_f32_16x16x16_fp8_fp8 v[24:31], v[130:131], v[6:7], v[24:31]
	s_clause 0x1
	flat_store_b128 v[52:53], v[28:31] offset:1008
	flat_store_b128 v[52:53], v[24:27] offset:992
	s_wait_dscnt 0x0
	s_barrier_signal -1
	s_barrier_wait -1
	flat_load_b96 v[0:2], v[64:65] offset:1132
	flat_load_b64 v[3:4], v[54:55] offset:16
	s_clause 0x1
	flat_load_b64 v[7:8], v[64:65] offset:1184
	flat_load_b32 v9, v[64:65] offset:1176
	s_wait_loadcnt_dscnt 0x303
	v_ashrrev_i32_e32 v6, 31, v0
	s_wait_loadcnt_dscnt 0x202
	v_add_co_u32 v5, vcc_lo, v3, v0
	s_wait_loadcnt_dscnt 0x101
	v_add_nc_u32_e32 v10, 16, v8
	s_wait_alu 0xfffd
	v_add_co_ci_u32_e64 v6, null, v4, v6, vcc_lo
	s_delay_alu instid0(VALU_DEP_2) | instskip(SKIP_3) | instid1(VALU_DEP_1)
	v_ashrrev_i32_e32 v11, 31, v10
	flat_load_b128 v[116:119], v[5:6]
	flat_load_b64 v[5:6], v[64:65] offset:1148
	v_lshrrev_b32_e32 v11, 28, v11
	v_add_nc_u32_e32 v11, v10, v11
	s_delay_alu instid0(VALU_DEP_1) | instskip(SKIP_1) | instid1(VALU_DEP_1)
	v_lshrrev_b32_e32 v12, 4, v11
	v_and_b32_e32 v11, -16, v11
	v_sub_nc_u32_e32 v10, v10, v11
	s_wait_loadcnt_dscnt 0x0
	v_ashrrev_i32_e32 v11, 31, v5
	v_sub_nc_u32_e32 v9, v6, v9
	v_sub_nc_u32_e32 v2, v5, v2
	s_delay_alu instid0(VALU_DEP_3) | instskip(NEXT) | instid1(VALU_DEP_3)
	v_lshrrev_b32_e32 v11, 29, v11
	v_add_nc_u32_e32 v6, v12, v9
	s_delay_alu instid0(VALU_DEP_3) | instskip(NEXT) | instid1(VALU_DEP_3)
	v_lshl_add_u32 v0, v2, 7, v0
	v_add_nc_u32_e32 v11, v5, v11
	s_delay_alu instid0(VALU_DEP_2) | instskip(NEXT) | instid1(VALU_DEP_2)
	v_sub_nc_u32_e32 v0, v0, v7
	v_and_b32_e32 v11, -8, v11
	s_delay_alu instid0(VALU_DEP_1) | instskip(NEXT) | instid1(VALU_DEP_1)
	v_sub_nc_u32_e32 v11, v5, v11
	v_xor_b32_e32 v6, v6, v11
	s_delay_alu instid0(VALU_DEP_1) | instskip(NEXT) | instid1(VALU_DEP_1)
	v_sub_nc_u32_e32 v5, v6, v1
	v_lshlrev_b32_e32 v5, 4, v5
	s_delay_alu instid0(VALU_DEP_1) | instskip(NEXT) | instid1(VALU_DEP_1)
	v_add3_u32 v2, v10, v0, v5
	v_ashrrev_i32_e32 v6, 31, v2
	v_add_co_u32 v5, vcc_lo, v3, v2
	v_add_nc_u32_e32 v2, 64, v8
	s_wait_alu 0xfffd
	s_delay_alu instid0(VALU_DEP_3) | instskip(SKIP_2) | instid1(VALU_DEP_1)
	v_add_co_ci_u32_e64 v6, null, v4, v6, vcc_lo
	flat_load_b128 v[128:131], v[5:6]
	v_ashrrev_i32_e32 v5, 31, v2
	v_lshrrev_b32_e32 v5, 28, v5
	s_delay_alu instid0(VALU_DEP_1) | instskip(NEXT) | instid1(VALU_DEP_1)
	v_add_nc_u32_e32 v5, v2, v5
	v_lshrrev_b32_e32 v6, 4, v5
	v_and_b32_e32 v5, -16, v5
	s_delay_alu instid0(VALU_DEP_1) | instskip(NEXT) | instid1(VALU_DEP_3)
	v_sub_nc_u32_e32 v2, v2, v5
	v_add_nc_u32_e32 v5, v6, v9
	s_delay_alu instid0(VALU_DEP_1) | instskip(NEXT) | instid1(VALU_DEP_1)
	v_xor_b32_e32 v5, v5, v11
	v_sub_nc_u32_e32 v5, v5, v1
	s_delay_alu instid0(VALU_DEP_1) | instskip(NEXT) | instid1(VALU_DEP_1)
	v_lshlrev_b32_e32 v5, 4, v5
	v_add3_u32 v2, v2, v0, v5
	s_delay_alu instid0(VALU_DEP_1) | instskip(SKIP_3) | instid1(VALU_DEP_3)
	v_ashrrev_i32_e32 v6, 31, v2
	v_add_co_u32 v5, vcc_lo, v3, v2
	v_add_nc_u32_e32 v2, 0x50, v8
	s_wait_alu 0xfffd
	v_add_co_ci_u32_e64 v6, null, v4, v6, vcc_lo
	flat_load_b128 v[98:101], v[5:6]
	v_ashrrev_i32_e32 v5, 31, v2
	s_delay_alu instid0(VALU_DEP_1) | instskip(NEXT) | instid1(VALU_DEP_1)
	v_lshrrev_b32_e32 v5, 28, v5
	v_add_nc_u32_e32 v5, v2, v5
	s_delay_alu instid0(VALU_DEP_1) | instskip(SKIP_1) | instid1(VALU_DEP_1)
	v_lshrrev_b32_e32 v6, 4, v5
	v_and_b32_e32 v5, -16, v5
	v_sub_nc_u32_e32 v2, v2, v5
	s_delay_alu instid0(VALU_DEP_3) | instskip(NEXT) | instid1(VALU_DEP_1)
	v_add_nc_u32_e32 v5, v6, v9
	v_xor_b32_e32 v5, v5, v11
	s_delay_alu instid0(VALU_DEP_1) | instskip(NEXT) | instid1(VALU_DEP_1)
	v_sub_nc_u32_e32 v1, v5, v1
	v_lshlrev_b32_e32 v1, 4, v1
	s_delay_alu instid0(VALU_DEP_1) | instskip(SKIP_1) | instid1(VALU_DEP_2)
	v_add3_u32 v0, v2, v0, v1
	v_mov_b32_e32 v2, s6
	v_ashrrev_i32_e32 v1, 31, v0
	v_add_co_u32 v0, vcc_lo, v3, v0
	v_mov_b32_e32 v3, s7
	s_wait_alu 0xfffd
	s_delay_alu instid0(VALU_DEP_3)
	v_add_co_ci_u32_e64 v1, null, v4, v1, vcc_lo
	flat_load_b128 v[112:115], v[0:1]
	v_dual_mov_b32 v0, s5 :: v_dual_mov_b32 v1, s1
	s_wait_alu 0xfffe
	s_swappc_b64 s[30:31], s[2:3]
	; sched_group_barrier mask(0x00000008) size(8) SyncID(0)
	; sched_group_barrier mask(0x00000100) size(1) SyncID(0)
	;; [unrolled: 1-line block ×8, first 2 shown]
	; sched_barrier mask(0x00000000)
	flat_load_b128 v[4:7], v[68:69]
	flat_load_b128 v[0:3], v[70:71]
	flat_load_b64 v[12:13], v[68:69]
	s_mov_b32 s2, exec_lo
	s_wait_loadcnt_dscnt 0x202
	v_lshrrev_b32_e32 v9, 31, v7
	s_wait_loadcnt_dscnt 0x101
	v_lshrrev_b32_e32 v8, 31, v0
	s_wait_loadcnt_dscnt 0x0
	v_and_b32_e32 v13, 0xffff, v13
	v_add_co_u32 v6, vcc_lo, v6, v9
	s_delay_alu instid0(VALU_DEP_3) | instskip(SKIP_2) | instid1(VALU_DEP_2)
	v_add_nc_u32_e32 v8, v0, v8
	s_wait_alu 0xfffd
	v_add_co_ci_u32_e64 v7, null, 0, v7, vcc_lo
	v_ashrrev_i32_e32 v10, 1, v8
	s_delay_alu instid0(VALU_DEP_2)
	v_alignbit_b32 v132, v7, v6, 1
.LBB6_105:                              ;   Parent Loop BB6_64 Depth=1
                                        ; =>  This Inner Loop Header: Depth=2
	v_readfirstlane_b32 s8, v12
	v_readfirstlane_b32 s9, v13
	s_delay_alu instid0(VALU_DEP_3) | instskip(SKIP_2) | instid1(VALU_DEP_3)
	v_readfirstlane_b32 s10, v132
	v_readfirstlane_b32 s11, v133
	s_wait_alu 0xf1ff
	v_cmp_eq_u64_e32 vcc_lo, s[8:9], v[12:13]
	s_delay_alu instid0(VALU_DEP_2)
	v_cmp_eq_u64_e64 s0, s[10:11], v[132:133]
	s_and_b32 s0, vcc_lo, s0
	s_wait_alu 0xfffe
	s_and_saveexec_b32 s0, s0
	s_wait_loadcnt 0x0
	buffer_load_b128 v[6:9], v10, s[8:11], null offen
                                        ; implicit-def: $vgpr10
	s_xor_b32 exec_lo, exec_lo, s0
	s_cbranch_execnz .LBB6_105
; %bb.106:                              ;   in Loop: Header=BB6_64 Depth=1
	s_mov_b32 exec_lo, s2
	v_add_nc_u32_e32 v14, 1, v1
	s_mov_b32 s2, exec_lo
	s_wait_loadcnt 0x0
	scratch_store_b128 off, v[6:9], s33
	flat_store_b32 v[70:71], v14 offset:4
	flat_load_b32 v10, v[80:81] offset:16
	s_wait_loadcnt_dscnt 0x0
	v_add_nc_u32_e32 v10, v10, v0
	s_delay_alu instid0(VALU_DEP_1) | instskip(SKIP_2) | instid1(VALU_DEP_1)
	v_lshrrev_b32_e32 v0, 31, v10
	flat_store_b32 v[70:71], v10
	v_add_nc_u32_e32 v0, v10, v0
	v_ashrrev_i32_e32 v0, 1, v0
.LBB6_107:                              ;   Parent Loop BB6_64 Depth=1
                                        ; =>  This Inner Loop Header: Depth=2
	v_readfirstlane_b32 s8, v12
	v_readfirstlane_b32 s9, v13
	;; [unrolled: 1-line block ×4, first 2 shown]
	s_wait_alu 0xf1ff
	s_delay_alu instid0(VALU_DEP_3) | instskip(NEXT) | instid1(VALU_DEP_2)
	v_cmp_eq_u64_e32 vcc_lo, s[8:9], v[12:13]
	v_cmp_eq_u64_e64 s0, s[10:11], v[132:133]
	s_and_b32 s0, vcc_lo, s0
	s_wait_alu 0xfffe
	s_and_saveexec_b32 s0, s0
	s_wait_loadcnt 0x0
	buffer_load_b128 v[6:9], v0, s[8:11], null offen
                                        ; implicit-def: $vgpr0
	s_xor_b32 exec_lo, exec_lo, s0
	s_cbranch_execnz .LBB6_107
; %bb.108:                              ;   in Loop: Header=BB6_64 Depth=1
	s_mov_b32 exec_lo, s2
	v_add_nc_u32_e32 v0, 2, v1
	s_mov_b32 s2, exec_lo
	s_wait_loadcnt 0x0
	scratch_store_b128 off, v[6:9], s33 offset:64
	flat_store_b32 v[70:71], v0 offset:4
	flat_load_b32 v11, v[80:81] offset:16
	s_wait_loadcnt_dscnt 0x0
	v_add_nc_u32_e32 v10, v11, v10
	s_delay_alu instid0(VALU_DEP_1) | instskip(SKIP_2) | instid1(VALU_DEP_1)
	v_lshrrev_b32_e32 v11, 31, v10
	flat_store_b32 v[70:71], v10
	v_add_nc_u32_e32 v11, v10, v11
	v_ashrrev_i32_e32 v11, 1, v11
.LBB6_109:                              ;   Parent Loop BB6_64 Depth=1
                                        ; =>  This Inner Loop Header: Depth=2
	v_readfirstlane_b32 s8, v12
	v_readfirstlane_b32 s9, v13
	v_readfirstlane_b32 s10, v132
	v_readfirstlane_b32 s11, v133
	s_wait_alu 0xf1ff
	s_delay_alu instid0(VALU_DEP_3) | instskip(NEXT) | instid1(VALU_DEP_2)
	v_cmp_eq_u64_e32 vcc_lo, s[8:9], v[12:13]
	v_cmp_eq_u64_e64 s0, s[10:11], v[132:133]
	s_and_b32 s0, vcc_lo, s0
	s_wait_alu 0xfffe
	s_and_saveexec_b32 s0, s0
	s_wait_loadcnt 0x0
	buffer_load_b128 v[6:9], v11, s[8:11], null offen
                                        ; implicit-def: $vgpr11
	s_xor_b32 exec_lo, exec_lo, s0
	s_cbranch_execnz .LBB6_109
; %bb.110:                              ;   in Loop: Header=BB6_64 Depth=1
	s_mov_b32 exec_lo, s2
	v_add_nc_u32_e32 v11, 3, v1
	s_mov_b32 s2, exec_lo
	s_wait_loadcnt 0x0
	scratch_store_b128 off, v[6:9], s33 offset:128
	flat_store_b32 v[70:71], v11 offset:4
	flat_load_b32 v11, v[80:81] offset:16
	s_wait_loadcnt_dscnt 0x0
	v_add_nc_u32_e32 v10, v11, v10
	s_delay_alu instid0(VALU_DEP_1) | instskip(SKIP_2) | instid1(VALU_DEP_1)
	v_lshrrev_b32_e32 v11, 31, v10
	flat_store_b32 v[70:71], v10
	v_add_nc_u32_e32 v11, v10, v11
	v_ashrrev_i32_e32 v11, 1, v11
.LBB6_111:                              ;   Parent Loop BB6_64 Depth=1
                                        ; =>  This Inner Loop Header: Depth=2
	v_readfirstlane_b32 s8, v12
	v_readfirstlane_b32 s9, v13
	v_readfirstlane_b32 s10, v132
	v_readfirstlane_b32 s11, v133
	s_wait_alu 0xf1ff
	s_delay_alu instid0(VALU_DEP_3) | instskip(NEXT) | instid1(VALU_DEP_2)
	v_cmp_eq_u64_e32 vcc_lo, s[8:9], v[12:13]
	v_cmp_eq_u64_e64 s0, s[10:11], v[132:133]
	s_and_b32 s0, vcc_lo, s0
	s_wait_alu 0xfffe
	s_and_saveexec_b32 s0, s0
	s_wait_loadcnt 0x0
	buffer_load_b128 v[6:9], v11, s[8:11], null offen
                                        ; implicit-def: $vgpr11
	s_xor_b32 exec_lo, exec_lo, s0
	s_cbranch_execnz .LBB6_111
	;; [unrolled: 33-line block ×3, first 2 shown]
; %bb.114:                              ;   in Loop: Header=BB6_64 Depth=1
	s_mov_b32 exec_lo, s2
	flat_store_b32 v[70:71], v0 offset:4
	flat_load_b32 v0, v[80:81] offset:16
	s_mov_b32 s2, exec_lo
	s_wait_loadcnt 0x1
	scratch_store_b128 off, v[6:9], s33 offset:224
	s_wait_loadcnt_dscnt 0x0
	v_sub_nc_u32_e32 v0, v10, v0
	s_delay_alu instid0(VALU_DEP_1) | instskip(SKIP_2) | instid1(VALU_DEP_1)
	v_lshrrev_b32_e32 v10, 31, v0
	flat_store_b32 v[70:71], v0
	v_add_nc_u32_e32 v10, v0, v10
	v_ashrrev_i32_e32 v15, 1, v10
.LBB6_115:                              ;   Parent Loop BB6_64 Depth=1
                                        ; =>  This Inner Loop Header: Depth=2
	v_readfirstlane_b32 s8, v12
	v_readfirstlane_b32 s9, v13
	;; [unrolled: 1-line block ×4, first 2 shown]
	s_wait_alu 0xf1ff
	s_delay_alu instid0(VALU_DEP_3) | instskip(NEXT) | instid1(VALU_DEP_2)
	v_cmp_eq_u64_e32 vcc_lo, s[8:9], v[12:13]
	v_cmp_eq_u64_e64 s0, s[10:11], v[132:133]
	s_and_b32 s0, vcc_lo, s0
	s_wait_alu 0xfffe
	s_and_saveexec_b32 s0, s0
	s_wait_loadcnt 0x0
	buffer_load_b128 v[8:11], v15, s[8:11], null offen
                                        ; implicit-def: $vgpr15
                                        ; implicit-def: $vgpr12_vgpr13
	s_xor_b32 exec_lo, exec_lo, s0
	s_cbranch_execnz .LBB6_115
; %bb.116:                              ;   in Loop: Header=BB6_64 Depth=1
	s_mov_b32 exec_lo, s2
	flat_store_b32 v[70:71], v14 offset:4
	flat_load_b32 v12, v[80:81] offset:16
	flat_load_b64 v[6:7], v[68:69] offset:8
	v_and_b32_e32 v5, 0xffff, v5
	s_mov_b32 s2, exec_lo
	s_wait_loadcnt 0x2
	scratch_store_b128 off, v[8:11], s33 offset:160
	s_wait_loadcnt_dscnt 0x101
	v_sub_nc_u32_e32 v0, v0, v12
	s_wait_loadcnt_dscnt 0x0
	v_lshrrev_b32_e32 v12, 31, v7
	s_delay_alu instid0(VALU_DEP_2) | instskip(NEXT) | instid1(VALU_DEP_2)
	v_lshrrev_b32_e32 v13, 31, v0
	v_add_co_u32 v6, vcc_lo, v6, v12
	s_wait_alu 0xfffd
	v_add_co_ci_u32_e64 v7, null, 0, v7, vcc_lo
	s_delay_alu instid0(VALU_DEP_3)
	v_add_nc_u32_e32 v12, v0, v13
	flat_store_b32 v[70:71], v0
	v_alignbit_b32 v6, v7, v6, 1
	v_mov_b32_e32 v7, v133
	v_ashrrev_i32_e32 v12, 1, v12
.LBB6_117:                              ;   Parent Loop BB6_64 Depth=1
                                        ; =>  This Inner Loop Header: Depth=2
	v_readfirstlane_b32 s8, v4
	v_readfirstlane_b32 s9, v5
	;; [unrolled: 1-line block ×4, first 2 shown]
	s_wait_alu 0xf1ff
	s_delay_alu instid0(VALU_DEP_3) | instskip(NEXT) | instid1(VALU_DEP_2)
	v_cmp_eq_u64_e32 vcc_lo, s[8:9], v[4:5]
	v_cmp_eq_u64_e64 s0, s[10:11], v[6:7]
	s_and_b32 s0, vcc_lo, s0
	s_wait_alu 0xfffe
	s_and_saveexec_b32 s0, s0
	s_wait_loadcnt 0x0
	buffer_load_b128 v[8:11], v12, s[8:11], null offen
                                        ; implicit-def: $vgpr12
	s_xor_b32 exec_lo, exec_lo, s0
	s_cbranch_execnz .LBB6_117
; %bb.118:                              ;   in Loop: Header=BB6_64 Depth=1
	s_mov_b32 exec_lo, s2
	flat_store_b32 v[70:71], v1 offset:4
	flat_load_b32 v12, v[80:81] offset:16
	s_mov_b32 s2, exec_lo
	s_wait_loadcnt 0x1
	scratch_store_b128 off, v[8:11], s33 offset:96
	s_wait_loadcnt_dscnt 0x0
	v_sub_nc_u32_e32 v0, v0, v12
	s_delay_alu instid0(VALU_DEP_1) | instskip(SKIP_2) | instid1(VALU_DEP_1)
	v_lshrrev_b32_e32 v12, 31, v0
	flat_store_b32 v[70:71], v0
	v_add_nc_u32_e32 v12, v0, v12
	v_ashrrev_i32_e32 v12, 1, v12
.LBB6_119:                              ;   Parent Loop BB6_64 Depth=1
                                        ; =>  This Inner Loop Header: Depth=2
	v_readfirstlane_b32 s8, v4
	v_readfirstlane_b32 s9, v5
	v_readfirstlane_b32 s10, v6
	v_readfirstlane_b32 s11, v7
	s_wait_alu 0xf1ff
	s_delay_alu instid0(VALU_DEP_3) | instskip(NEXT) | instid1(VALU_DEP_2)
	v_cmp_eq_u64_e32 vcc_lo, s[8:9], v[4:5]
	v_cmp_eq_u64_e64 s0, s[10:11], v[6:7]
	s_and_b32 s0, vcc_lo, s0
	s_wait_alu 0xfffe
	s_and_saveexec_b32 s0, s0
	s_wait_loadcnt 0x0
	buffer_load_b128 v[8:11], v12, s[8:11], null offen
                                        ; implicit-def: $vgpr4_vgpr5_vgpr6_vgpr7
                                        ; implicit-def: $vgpr12
	s_xor_b32 exec_lo, exec_lo, s0
	s_cbranch_execnz .LBB6_119
; %bb.120:                              ;   in Loop: Header=BB6_64 Depth=1
	s_mov_b32 exec_lo, s2
	flat_store_b32 v[70:71], v3 offset:12
	flat_load_b32 v4, v[80:81] offset:24
	s_mov_b32 s0, exec_lo
	s_wait_loadcnt_dscnt 0x0
	v_sub_nc_u32_e32 v0, v0, v4
	flat_store_b32 v[70:71], v0
	flat_load_b128 v[4:7], v[66:67]
	flat_load_b32 v15, v[70:71] offset:16
	s_wait_loadcnt_dscnt 0x101
	v_or_b32_e32 v12, v5, v4
	v_add_nc_u32_e32 v13, v2, v5
	v_add_nc_u32_e32 v14, v6, v3
	s_wait_loadcnt_dscnt 0x0
	v_add_nc_u32_e32 v15, v15, v7
	v_or3_b32 v16, v12, v6, v7
	v_add_nc_u32_e32 v12, v1, v4
	scratch_store_b128 off, v[8:11], s33 offset:32
	flat_store_b128 v[70:71], v[12:15] offset:4
	v_cmpx_ne_u32_e32 0, v16
	s_cbranch_execz .LBB6_122
; %bb.121:                              ;   in Loop: Header=BB6_64 Depth=1
	flat_load_b96 v[1:3], v[80:81] offset:16
	s_wait_loadcnt_dscnt 0x0
	v_mul_lo_u32 v1, v1, v4
	v_mul_lo_u32 v2, v2, v5
	;; [unrolled: 1-line block ×3, first 2 shown]
	s_delay_alu instid0(VALU_DEP_3) | instskip(NEXT) | instid1(VALU_DEP_1)
	v_add3_u32 v0, v7, v0, v1
	v_add3_u32 v0, v0, v2, v3
	flat_store_b32 v[70:71], v0
.LBB6_122:                              ;   in Loop: Header=BB6_64 Depth=1
	s_wait_alu 0xfffe
	s_or_b32 exec_lo, exec_lo, s0
	scratch_load_b128 v[8:11], off, s33 offset:768
	s_clause 0x1
	flat_load_b128 v[4:7], v[52:53] offset:16
	flat_load_b128 v[0:3], v[52:53]
	s_clause 0x6
	scratch_load_b128 v[12:15], off, s33 offset:784
	scratch_load_b128 v[16:19], off, s33 offset:832
	scratch_load_b128 v[20:23], off, s33 offset:848
	scratch_load_b128 v[24:27], off, s33 offset:896
	scratch_load_b128 v[28:31], off, s33 offset:912
	scratch_load_b128 v[32:35], off, s33 offset:960
	scratch_load_b128 v[36:39], off, s33 offset:976
	s_getpc_b64 s[2:3]
	s_wait_alu 0xfffe
	s_sext_i32_i16 s3, s3
	s_add_co_u32 s2, s2, _ZNK2ck44ThreadwiseTensorSliceTransfer_StaticToStaticINS_7pk_i4_tENS_9f8_fnuz_tEKNS_16TensorDescriptorINS_5TupleIJNS_7UnMergeINS4_IJNS_17integral_constantIiLi4EEENS6_IiLi1EEENS6_IiLi2EEENS6_IiLi32EEEEEELb0EEEEEENS4_IJNS_8SequenceIJLi0EEEEEEENS4_IJNSE_IJLi1ELi2ELi3ELi4EEEEEEESH_NS6_IlLl256EEEEESL_NS_16tensor_operation12element_wise11PassThroughENSE_IJLi4ELi1ELi2ELi32EEEENSE_IJLi1ELi2ELi0ELi3EEEELi3ELi32ELb0EE3RunINS4_IJNS6_IiLi0EEEST_ST_ST_EEESU_NS_12StaticBufferILNS_16AddressSpaceEnumE4ES1_Li256ELb1EEENSV_ILSW_4ES2_Li256ELb1EEEEEvRSL_RKT_RKT1_SZ_RKT0_RT2_@rel32@lo+12
	s_wait_alu 0xfffe
	s_add_co_ci_u32 s3, s3, _ZNK2ck44ThreadwiseTensorSliceTransfer_StaticToStaticINS_7pk_i4_tENS_9f8_fnuz_tEKNS_16TensorDescriptorINS_5TupleIJNS_7UnMergeINS4_IJNS_17integral_constantIiLi4EEENS6_IiLi1EEENS6_IiLi2EEENS6_IiLi32EEEEEELb0EEEEEENS4_IJNS_8SequenceIJLi0EEEEEEENS4_IJNSE_IJLi1ELi2ELi3ELi4EEEEEEESH_NS6_IlLl256EEEEESL_NS_16tensor_operation12element_wise11PassThroughENSE_IJLi4ELi1ELi2ELi32EEEENSE_IJLi1ELi2ELi0ELi3EEEELi3ELi32ELb0EE3RunINS4_IJNS6_IiLi0EEEST_ST_ST_EEESU_NS_12StaticBufferILNS_16AddressSpaceEnumE4ES1_Li256ELb1EEENSV_ILSW_4ES2_Li256ELb1EEEEEvRSL_RKT_RKT1_SZ_RKT0_RT2_@rel32@hi+24
	s_wait_loadcnt_dscnt 0x700
	v_wmma_f32_16x16x16_fp8_fp8 v[0:7], v[116:117], v[8:9], v[0:7]
	s_delay_alu instid0(VALU_DEP_1) | instskip(SKIP_3) | instid1(VALU_DEP_1)
	v_wmma_f32_16x16x16_fp8_fp8 v[0:7], v[118:119], v[10:11], v[0:7]
	flat_load_b128 v[8:11], v[52:53] offset:32
	s_wait_loadcnt 0x7
	v_wmma_f32_16x16x16_fp8_fp8 v[0:7], v[128:129], v[12:13], v[0:7]
	v_wmma_f32_16x16x16_fp8_fp8 v[0:7], v[130:131], v[14:15], v[0:7]
	flat_load_b128 v[12:15], v[52:53] offset:48
	s_wait_loadcnt_dscnt 0x0
	v_wmma_f32_16x16x16_fp8_fp8 v[8:15], v[116:117], v[16:17], v[8:15]
	s_delay_alu instid0(VALU_DEP_1) | instskip(SKIP_2) | instid1(VALU_DEP_1)
	v_wmma_f32_16x16x16_fp8_fp8 v[8:15], v[118:119], v[18:19], v[8:15]
	flat_load_b128 v[16:19], v[52:53] offset:64
	v_wmma_f32_16x16x16_fp8_fp8 v[8:15], v[128:129], v[20:21], v[8:15]
	v_wmma_f32_16x16x16_fp8_fp8 v[8:15], v[130:131], v[22:23], v[8:15]
	flat_load_b128 v[20:23], v[52:53] offset:80
	s_wait_loadcnt_dscnt 0x0
	v_wmma_f32_16x16x16_fp8_fp8 v[16:23], v[116:117], v[24:25], v[16:23]
	s_delay_alu instid0(VALU_DEP_1) | instskip(SKIP_2) | instid1(VALU_DEP_1)
	v_wmma_f32_16x16x16_fp8_fp8 v[16:23], v[118:119], v[26:27], v[16:23]
	flat_load_b128 v[24:27], v[52:53] offset:96
	v_wmma_f32_16x16x16_fp8_fp8 v[16:23], v[128:129], v[28:29], v[16:23]
	v_wmma_f32_16x16x16_fp8_fp8 v[16:23], v[130:131], v[30:31], v[16:23]
	flat_load_b128 v[28:31], v[52:53] offset:112
	s_wait_loadcnt_dscnt 0x0
	v_wmma_f32_16x16x16_fp8_fp8 v[24:31], v[116:117], v[32:33], v[24:31]
	s_delay_alu instid0(VALU_DEP_1) | instskip(SKIP_2) | instid1(VALU_DEP_1)
	v_wmma_f32_16x16x16_fp8_fp8 v[24:31], v[118:119], v[34:35], v[24:31]
	scratch_load_b128 v[32:35], off, s33 offset:800
	v_wmma_f32_16x16x16_fp8_fp8 v[24:31], v[128:129], v[36:37], v[24:31]
	v_wmma_f32_16x16x16_fp8_fp8 v[24:31], v[130:131], v[38:39], v[24:31]
	scratch_load_b128 v[36:39], off, s33 offset:816
	s_wait_loadcnt 0x1
	v_wmma_f32_16x16x16_fp8_fp8 v[0:7], v[98:99], v[32:33], v[0:7]
	s_delay_alu instid0(VALU_DEP_1) | instskip(SKIP_1) | instid1(VALU_DEP_1)
	v_wmma_f32_16x16x16_fp8_fp8 v[0:7], v[100:101], v[34:35], v[0:7]
	s_wait_loadcnt 0x0
	v_wmma_f32_16x16x16_fp8_fp8 v[0:7], v[112:113], v[36:37], v[0:7]
	s_delay_alu instid0(VALU_DEP_1)
	v_wmma_f32_16x16x16_fp8_fp8 v[0:7], v[114:115], v[38:39], v[0:7]
	flat_store_b128 v[52:53], v[0:3]
	scratch_load_b128 v[0:3], off, s33 offset:864
	flat_store_b128 v[52:53], v[4:7] offset:16
	scratch_load_b128 v[4:7], off, s33 offset:880
	s_wait_loadcnt 0x1
	v_nop
	v_wmma_f32_16x16x16_fp8_fp8 v[8:15], v[98:99], v[0:1], v[8:15]
	s_delay_alu instid0(VALU_DEP_1) | instskip(SKIP_3) | instid1(VALU_DEP_1)
	v_wmma_f32_16x16x16_fp8_fp8 v[8:15], v[100:101], v[2:3], v[8:15]
	scratch_load_b128 v[0:3], off, s33 offset:928
	s_wait_loadcnt 0x1
	v_wmma_f32_16x16x16_fp8_fp8 v[8:15], v[112:113], v[4:5], v[8:15]
	v_wmma_f32_16x16x16_fp8_fp8 v[8:15], v[114:115], v[6:7], v[8:15]
	scratch_load_b128 v[4:7], off, s33 offset:944
	s_clause 0x1
	flat_store_b128 v[52:53], v[8:11] offset:32
	flat_store_b128 v[52:53], v[12:15] offset:48
	s_wait_loadcnt 0x1
	v_wmma_f32_16x16x16_fp8_fp8 v[16:23], v[98:99], v[0:1], v[16:23]
	s_delay_alu instid0(VALU_DEP_1) | instskip(SKIP_3) | instid1(VALU_DEP_1)
	v_wmma_f32_16x16x16_fp8_fp8 v[16:23], v[100:101], v[2:3], v[16:23]
	scratch_load_b128 v[0:3], off, s33 offset:992
	s_wait_loadcnt 0x1
	v_wmma_f32_16x16x16_fp8_fp8 v[16:23], v[112:113], v[4:5], v[16:23]
	v_wmma_f32_16x16x16_fp8_fp8 v[16:23], v[114:115], v[6:7], v[16:23]
	scratch_load_b128 v[4:7], off, s33 offset:1008
	s_clause 0x1
	flat_store_b128 v[52:53], v[20:23] offset:80
	flat_store_b128 v[52:53], v[16:19] offset:64
	s_wait_loadcnt 0x1
	v_wmma_f32_16x16x16_fp8_fp8 v[24:31], v[98:99], v[0:1], v[24:31]
	s_delay_alu instid0(VALU_DEP_1) | instskip(SKIP_1) | instid1(VALU_DEP_1)
	v_wmma_f32_16x16x16_fp8_fp8 v[24:31], v[100:101], v[2:3], v[24:31]
	s_wait_loadcnt 0x0
	v_wmma_f32_16x16x16_fp8_fp8 v[24:31], v[112:113], v[4:5], v[24:31]
	s_delay_alu instid0(VALU_DEP_1)
	v_wmma_f32_16x16x16_fp8_fp8 v[24:31], v[114:115], v[6:7], v[24:31]
	s_clause 0x1
	flat_store_b128 v[52:53], v[28:31] offset:112
	flat_store_b128 v[52:53], v[24:27] offset:96
	s_clause 0x3
	flat_load_b64 v[7:8], v[64:65] offset:1148
	flat_load_b64 v[9:10], v[64:65] offset:1164
	flat_load_b128 v[0:3], v[64:65] offset:1176
	flat_load_b96 v[4:6], v[64:65] offset:1132
	s_wait_loadcnt_dscnt 0x202
	v_sub_nc_u32_e32 v7, v7, v10
	s_wait_loadcnt_dscnt 0x101
	v_add_nc_u32_e32 v0, v9, v0
	s_wait_loadcnt_dscnt 0x0
	v_sub_nc_u32_e32 v2, v4, v2
	v_add3_u32 v1, v7, v1, 32
	v_sub_nc_u32_e32 v7, v8, v9
	v_sub_nc_u32_e32 v8, v8, v0
	s_delay_alu instid0(VALU_DEP_3) | instskip(NEXT) | instid1(VALU_DEP_1)
	v_ashrrev_i32_e32 v10, 31, v1
	v_lshrrev_b32_e32 v10, 29, v10
	s_delay_alu instid0(VALU_DEP_1) | instskip(NEXT) | instid1(VALU_DEP_1)
	v_add_nc_u32_e32 v10, v1, v10
	v_and_b32_e32 v10, -8, v10
	s_delay_alu instid0(VALU_DEP_1) | instskip(SKIP_1) | instid1(VALU_DEP_2)
	v_sub_nc_u32_e32 v12, v1, v10
	v_sub_nc_u32_e32 v1, v1, v6
	v_xor_b32_e32 v7, v12, v7
	s_delay_alu instid0(VALU_DEP_2) | instskip(NEXT) | instid1(VALU_DEP_2)
	v_lshlrev_b32_e32 v1, 7, v1
	v_sub_nc_u32_e32 v6, v7, v5
	s_delay_alu instid0(VALU_DEP_2) | instskip(NEXT) | instid1(VALU_DEP_2)
	v_add_nc_u32_e32 v2, v2, v1
	v_lshlrev_b32_e32 v6, 4, v6
	s_delay_alu instid0(VALU_DEP_1)
	v_add3_u32 v10, v1, v4, v6
	flat_load_b64 v[6:7], v[54:55] offset:16
	v_ashrrev_i32_e32 v11, 31, v10
	s_wait_loadcnt_dscnt 0x0
	v_add_co_u32 v10, vcc_lo, v6, v10
	s_wait_alu 0xfffd
	s_delay_alu instid0(VALU_DEP_2) | instskip(SKIP_2) | instid1(VALU_DEP_1)
	v_add_co_ci_u32_e64 v11, null, v7, v11, vcc_lo
	flat_load_b128 v[116:119], v[10:11]
	v_add_nc_u32_e32 v10, 16, v3
	v_ashrrev_i32_e32 v11, 31, v10
	s_delay_alu instid0(VALU_DEP_1) | instskip(NEXT) | instid1(VALU_DEP_1)
	v_lshrrev_b32_e32 v11, 28, v11
	v_add_nc_u32_e32 v11, v10, v11
	s_delay_alu instid0(VALU_DEP_1) | instskip(SKIP_1) | instid1(VALU_DEP_2)
	v_lshrrev_b32_e32 v13, 4, v11
	v_and_b32_e32 v11, -16, v11
	v_add_nc_u32_e32 v0, v13, v8
	s_delay_alu instid0(VALU_DEP_2) | instskip(NEXT) | instid1(VALU_DEP_2)
	v_sub_nc_u32_e32 v10, v10, v11
	v_xor_b32_e32 v0, v0, v12
	s_delay_alu instid0(VALU_DEP_1) | instskip(NEXT) | instid1(VALU_DEP_1)
	v_sub_nc_u32_e32 v0, v0, v5
	v_lshlrev_b32_e32 v0, 4, v0
	s_delay_alu instid0(VALU_DEP_1) | instskip(NEXT) | instid1(VALU_DEP_1)
	v_add3_u32 v0, v10, v2, v0
	v_ashrrev_i32_e32 v1, 31, v0
	v_add_co_u32 v0, vcc_lo, v6, v0
	s_wait_alu 0xfffd
	s_delay_alu instid0(VALU_DEP_2) | instskip(SKIP_2) | instid1(VALU_DEP_1)
	v_add_co_ci_u32_e64 v1, null, v7, v1, vcc_lo
	flat_load_b128 v[128:131], v[0:1]
	v_add_nc_u32_e32 v0, 64, v3
	v_ashrrev_i32_e32 v1, 31, v0
	s_delay_alu instid0(VALU_DEP_1) | instskip(NEXT) | instid1(VALU_DEP_1)
	v_lshrrev_b32_e32 v1, 28, v1
	v_add_nc_u32_e32 v1, v0, v1
	s_delay_alu instid0(VALU_DEP_1) | instskip(SKIP_1) | instid1(VALU_DEP_1)
	v_lshrrev_b32_e32 v4, 4, v1
	v_and_b32_e32 v1, -16, v1
	v_sub_nc_u32_e32 v0, v0, v1
	s_delay_alu instid0(VALU_DEP_3) | instskip(NEXT) | instid1(VALU_DEP_1)
	v_add_nc_u32_e32 v1, v4, v8
	v_xor_b32_e32 v1, v1, v12
	s_delay_alu instid0(VALU_DEP_1) | instskip(NEXT) | instid1(VALU_DEP_1)
	v_sub_nc_u32_e32 v1, v1, v5
	v_lshlrev_b32_e32 v1, 4, v1
	s_delay_alu instid0(VALU_DEP_1) | instskip(NEXT) | instid1(VALU_DEP_1)
	v_add3_u32 v0, v0, v2, v1
	v_ashrrev_i32_e32 v1, 31, v0
	v_add_co_u32 v0, vcc_lo, v6, v0
	s_wait_alu 0xfffd
	s_delay_alu instid0(VALU_DEP_2) | instskip(SKIP_2) | instid1(VALU_DEP_1)
	v_add_co_ci_u32_e64 v1, null, v7, v1, vcc_lo
	flat_load_b128 v[98:101], v[0:1]
	v_add_nc_u32_e32 v0, 0x50, v3
	v_ashrrev_i32_e32 v1, 31, v0
	s_delay_alu instid0(VALU_DEP_1) | instskip(NEXT) | instid1(VALU_DEP_1)
	v_lshrrev_b32_e32 v1, 28, v1
	v_add_nc_u32_e32 v1, v0, v1
	s_delay_alu instid0(VALU_DEP_1) | instskip(SKIP_1) | instid1(VALU_DEP_1)
	v_lshrrev_b32_e32 v3, 4, v1
	v_and_b32_e32 v1, -16, v1
	v_sub_nc_u32_e32 v0, v0, v1
	s_delay_alu instid0(VALU_DEP_3) | instskip(SKIP_1) | instid1(VALU_DEP_2)
	v_add_nc_u32_e32 v1, v3, v8
	v_mov_b32_e32 v3, s7
	v_xor_b32_e32 v1, v1, v12
	s_delay_alu instid0(VALU_DEP_1) | instskip(NEXT) | instid1(VALU_DEP_1)
	v_sub_nc_u32_e32 v1, v1, v5
	v_lshlrev_b32_e32 v1, 4, v1
	s_delay_alu instid0(VALU_DEP_1) | instskip(SKIP_1) | instid1(VALU_DEP_2)
	v_add3_u32 v0, v0, v2, v1
	v_mov_b32_e32 v2, s6
	v_ashrrev_i32_e32 v1, 31, v0
	v_add_co_u32 v0, vcc_lo, v6, v0
	s_wait_alu 0xfffd
	s_delay_alu instid0(VALU_DEP_2)
	v_add_co_ci_u32_e64 v1, null, v7, v1, vcc_lo
	flat_load_b128 v[112:115], v[0:1]
	v_dual_mov_b32 v0, s5 :: v_dual_mov_b32 v1, s1
	s_wait_alu 0xfffe
	s_swappc_b64 s[30:31], s[2:3]
	; sched_group_barrier mask(0x00000008) size(4) SyncID(0)
	; sched_group_barrier mask(0x00000020) size(1) SyncID(0)
	;; [unrolled: 1-line block ×24, first 2 shown]
	; sched_barrier mask(0x00000000)
	s_clause 0x8
	flat_load_u8 v4, v[86:87] offset:288
	flat_load_u8 v8, v[86:87] offset:304
	flat_load_b128 v[0:3], v[86:87]
	flat_load_u8 v12, v[86:87] offset:320
	flat_load_u8 v16, v[86:87] offset:336
	;; [unrolled: 1-line block ×6, first 2 shown]
	s_wait_loadcnt_dscnt 0x808
	v_and_b32_e32 v4, 1, v4
	s_wait_loadcnt_dscnt 0x707
	v_and_b32_e32 v8, 1, v8
	;; [unrolled: 2-line block ×4, first 2 shown]
	v_cmp_eq_u32_e32 vcc_lo, 1, v4
	flat_load_b128 v[4:7], v[86:87] offset:16
	s_wait_loadcnt_dscnt 0x404
	v_and_b32_e32 v20, 1, v20
	s_wait_loadcnt_dscnt 0x303
	v_and_b32_e32 v24, 1, v24
	s_wait_loadcnt_dscnt 0x202
	s_wait_alu 0xfffd
	v_dual_cndmask_b32 v3, 0, v3 :: v_dual_and_b32 v28, 1, v28
	v_dual_cndmask_b32 v2, 0, v2 :: v_dual_cndmask_b32 v1, 0, v1
	v_cndmask_b32_e32 v0, 0, v0, vcc_lo
	v_cmp_eq_u32_e32 vcc_lo, 1, v8
	flat_load_b128 v[8:11], v[86:87] offset:32
	s_wait_loadcnt_dscnt 0x202
	v_and_b32_e32 v31, 1, v31
	s_clause 0x1
	flat_store_b128 v[86:87], v[0:3]
	flat_store_b128 v[86:87], v[0:3] offset:560
	s_wait_loadcnt_dscnt 0x103
	s_wait_alu 0xfffd
	v_dual_cndmask_b32 v7, 0, v7 :: v_dual_cndmask_b32 v6, 0, v6
	v_dual_cndmask_b32 v5, 0, v5 :: v_dual_cndmask_b32 v4, 0, v4
	v_cmp_eq_u32_e32 vcc_lo, 1, v12
	flat_load_b128 v[12:15], v[86:87] offset:48
	flat_store_b128 v[86:87], v[4:7] offset:16
	s_wait_loadcnt_dscnt 0x104
	s_wait_alu 0xfffd
	v_dual_cndmask_b32 v11, 0, v11 :: v_dual_cndmask_b32 v10, 0, v10
	v_dual_cndmask_b32 v9, 0, v9 :: v_dual_cndmask_b32 v8, 0, v8
	v_cmp_eq_u32_e32 vcc_lo, 1, v16
	flat_load_b128 v[16:19], v[86:87] offset:64
	v_perm_b32 v4, v4, v4, 0x3020104
	v_alignbit_b32 v7, v7, v6, 24
	v_perm_b32 v6, v6, v6, 0x3060504
	s_clause 0x1
	flat_store_b128 v[86:87], v[8:11] offset:32
	flat_store_b96 v[86:87], v[4:6] offset:576
	flat_load_b32 v4, v[86:87] offset:31
	v_alignbit_b32 v5, v9, v8, 24
	v_perm_b32 v6, v9, v10, 0x2010007
	s_wait_loadcnt_dscnt 0x205
	s_wait_alu 0xfffd
	v_dual_cndmask_b32 v15, 0, v15 :: v_dual_cndmask_b32 v14, 0, v14
	v_dual_cndmask_b32 v13, 0, v13 :: v_dual_cndmask_b32 v12, 0, v12
	v_cmp_eq_u32_e32 vcc_lo, 1, v20
	flat_load_b128 v[20:23], v[86:87] offset:80
	flat_store_b128 v[86:87], v[12:15] offset:48
	s_wait_loadcnt_dscnt 0x205
	s_wait_alu 0xfffd
	v_dual_cndmask_b32 v19, 0, v19 :: v_dual_cndmask_b32 v18, 0, v18
	v_dual_cndmask_b32 v17, 0, v17 :: v_dual_cndmask_b32 v16, 0, v16
	v_cmp_eq_u32_e32 vcc_lo, 1, v24
	flat_load_b128 v[24:27], v[86:87] offset:96
	flat_store_b128 v[86:87], v[16:19] offset:64
	s_wait_loadcnt_dscnt 0x103
	s_wait_alu 0xfffd
	v_dual_cndmask_b32 v23, 0, v23 :: v_dual_cndmask_b32 v22, 0, v22
	v_dual_cndmask_b32 v21, 0, v21 :: v_dual_cndmask_b32 v20, 0, v20
	v_cmp_eq_u32_e32 vcc_lo, 1, v28
	flat_store_b128 v[86:87], v[20:23] offset:80
	s_wait_loadcnt_dscnt 0x2
	s_wait_alu 0xfffd
	v_dual_cndmask_b32 v25, 0, v25 :: v_dual_cndmask_b32 v24, 0, v24
	v_dual_cndmask_b32 v27, 0, v27 :: v_dual_cndmask_b32 v26, 0, v26
	v_cmp_eq_u32_e32 vcc_lo, 1, v31
	flat_store_b128 v[86:87], v[24:27] offset:96
	flat_load_b128 v[27:30], v[86:87] offset:112
	s_wait_loadcnt_dscnt 0x0
	s_wait_alu 0xfffd
	v_dual_cndmask_b32 v30, 0, v30 :: v_dual_cndmask_b32 v29, 0, v29
	v_dual_cndmask_b32 v28, 0, v28 :: v_dual_cndmask_b32 v27, 0, v27
	flat_store_b128 v[86:87], v[27:30] offset:112
	v_lshrrev_b32_e32 v27, 16, v7
	v_lshrrev_b32_e32 v28, 8, v7
	;; [unrolled: 1-line block ×3, first 2 shown]
	s_delay_alu instid0(VALU_DEP_3) | instskip(NEXT) | instid1(VALU_DEP_3)
	v_lshlrev_b16 v27, 8, v27
	v_and_b32_e32 v28, 0xff, v28
	flat_store_b8 v[86:87], v7 offset:590
	v_alignbit_b32 v7, v11, v10, 24
	flat_load_u8 v11, v[86:87] offset:127
	v_or_b32_e32 v27, v28, v27
	flat_store_b128 v[86:87], v[4:7] offset:591
	flat_load_b32 v4, v[86:87] offset:47
	v_alignbit_b32 v5, v13, v12, 24
	v_perm_b32 v6, v13, v14, 0x2010007
	v_alignbit_b32 v7, v15, v14, 24
	flat_store_b16 v[86:87], v27 offset:588
	s_wait_loadcnt_dscnt 0x103
	flat_store_b8 v[86:87], v11 offset:687
	s_wait_loadcnt_dscnt 0x2
	flat_store_b128 v[86:87], v[4:7] offset:607
	flat_load_b32 v4, v[86:87] offset:63
	v_alignbit_b32 v5, v17, v16, 24
	v_perm_b32 v6, v17, v18, 0x2010007
	v_alignbit_b32 v7, v19, v18, 24
	s_wait_loadcnt_dscnt 0x0
	flat_store_b128 v[86:87], v[4:7] offset:623
	flat_load_b32 v4, v[86:87] offset:79
	v_alignbit_b32 v5, v21, v20, 24
	v_perm_b32 v6, v21, v22, 0x2010007
	v_alignbit_b32 v7, v23, v22, 24
	s_wait_loadcnt_dscnt 0x0
	flat_store_b128 v[86:87], v[4:7] offset:639
	s_clause 0x1
	flat_load_b32 v4, v[86:87] offset:95
	flat_load_b128 v[7:10], v[86:87] offset:107
	v_alignbit_b32 v5, v25, v24, 24
	v_perm_b32 v6, v25, v26, 0x2010007
	s_wait_loadcnt_dscnt 0x0
	flat_store_b128 v[86:87], v[4:7] offset:655
	flat_load_b32 v7, v[86:87] offset:123
	v_dual_mov_b32 v4, v8 :: v_dual_mov_b32 v5, v9
	v_mov_b32_e32 v6, v10
	s_wait_loadcnt_dscnt 0x0
	flat_store_b128 v[86:87], v[4:7] offset:671
	flat_load_b32 v6, v[86:87] offset:728
	flat_load_b64 v[4:5], v[54:55]
	s_wait_loadcnt_dscnt 0x101
	v_ashrrev_i32_e32 v7, 31, v6
	s_wait_loadcnt_dscnt 0x0
	v_add_co_u32 v4, vcc_lo, v4, v6
	s_wait_alu 0xfffd
	s_delay_alu instid0(VALU_DEP_2)
	v_add_co_ci_u32_e64 v5, null, v5, v7, vcc_lo
	flat_store_b128 v[4:5], v[0:3]
	s_clause 0x1
	flat_load_b32 v0, v[86:87] offset:776
	flat_load_b32 v1, v[86:87] offset:744
	s_wait_loadcnt_dscnt 0x101
	v_add_nc_u32_e32 v103, 1, v0
	flat_load_b32 v0, v[86:87] offset:764
	flat_store_b32 v[86:87], v103 offset:776
	s_wait_loadcnt_dscnt 0x1
	v_sub_nc_u32_e32 v0, v103, v0
	s_delay_alu instid0(VALU_DEP_1)
	v_add_nc_u32_e32 v4, v1, v0
	flat_load_b128 v[0:3], v[86:87] offset:748
	flat_store_b64 v[86:87], v[102:103] offset:760
	s_wait_loadcnt_dscnt 0x1
	v_sub_nc_u32_e32 v5, v0, v3
	flat_load_b96 v[0:2], v[86:87] offset:728
	v_ashrrev_i32_e32 v3, 31, v4
	flat_store_b64 v[86:87], v[4:5] offset:744
	v_lshrrev_b32_e32 v3, 29, v3
	s_delay_alu instid0(VALU_DEP_1) | instskip(NEXT) | instid1(VALU_DEP_1)
	v_add_nc_u32_e32 v3, v4, v3
	v_and_b32_e32 v3, -8, v3
	s_delay_alu instid0(VALU_DEP_1) | instskip(NEXT) | instid1(VALU_DEP_1)
	v_sub_nc_u32_e32 v3, v4, v3
	v_xor_b32_e32 v3, v5, v3
	s_wait_loadcnt_dscnt 0x1
	v_sub_nc_u32_e32 v2, v4, v2
	s_delay_alu instid0(VALU_DEP_2) | instskip(NEXT) | instid1(VALU_DEP_2)
	v_sub_nc_u32_e32 v1, v3, v1
	v_lshlrev_b32_e32 v2, 7, v2
	s_delay_alu instid0(VALU_DEP_2) | instskip(NEXT) | instid1(VALU_DEP_1)
	v_lshlrev_b32_e32 v1, 4, v1
	v_add3_u32 v2, v2, v1, v0
	flat_store_b96 v[86:87], v[2:4] offset:728
	flat_load_b64 v[0:1], v[54:55]
	v_ashrrev_i32_e32 v3, 31, v2
	s_wait_loadcnt_dscnt 0x0
	v_add_co_u32 v4, vcc_lo, v0, v2
	s_wait_alu 0xfffd
	s_delay_alu instid0(VALU_DEP_2)
	v_add_co_ci_u32_e64 v5, null, v1, v3, vcc_lo
	flat_load_b128 v[0:3], v[86:87] offset:576
	s_wait_loadcnt_dscnt 0x0
	flat_store_b128 v[4:5], v[0:3]
	s_clause 0x1
	flat_load_b32 v0, v[86:87] offset:776
	flat_load_b32 v1, v[86:87] offset:744
	s_wait_loadcnt_dscnt 0x101
	v_add_nc_u32_e32 v103, 1, v0
	flat_load_b32 v0, v[86:87] offset:764
	flat_store_b32 v[86:87], v103 offset:776
	s_wait_loadcnt_dscnt 0x1
	v_sub_nc_u32_e32 v0, v103, v0
	s_delay_alu instid0(VALU_DEP_1)
	v_add_nc_u32_e32 v4, v1, v0
	flat_load_b128 v[0:3], v[86:87] offset:748
	flat_store_b64 v[86:87], v[102:103] offset:760
	s_wait_loadcnt_dscnt 0x1
	v_sub_nc_u32_e32 v5, v0, v3
	flat_load_b96 v[0:2], v[86:87] offset:728
	v_ashrrev_i32_e32 v3, 31, v4
	flat_store_b64 v[86:87], v[4:5] offset:744
	v_lshrrev_b32_e32 v3, 29, v3
	s_delay_alu instid0(VALU_DEP_1) | instskip(NEXT) | instid1(VALU_DEP_1)
	v_add_nc_u32_e32 v3, v4, v3
	v_and_b32_e32 v3, -8, v3
	s_delay_alu instid0(VALU_DEP_1) | instskip(NEXT) | instid1(VALU_DEP_1)
	v_sub_nc_u32_e32 v3, v4, v3
	v_xor_b32_e32 v3, v5, v3
	s_wait_loadcnt_dscnt 0x1
	v_sub_nc_u32_e32 v2, v4, v2
	s_delay_alu instid0(VALU_DEP_2) | instskip(NEXT) | instid1(VALU_DEP_2)
	v_sub_nc_u32_e32 v1, v3, v1
	v_lshlrev_b32_e32 v2, 7, v2
	s_delay_alu instid0(VALU_DEP_2) | instskip(NEXT) | instid1(VALU_DEP_1)
	v_lshlrev_b32_e32 v1, 4, v1
	v_add3_u32 v2, v2, v1, v0
	flat_store_b96 v[86:87], v[2:4] offset:728
	flat_load_b64 v[0:1], v[54:55]
	v_ashrrev_i32_e32 v3, 31, v2
	s_wait_loadcnt_dscnt 0x0
	v_add_co_u32 v4, vcc_lo, v0, v2
	s_wait_alu 0xfffd
	s_delay_alu instid0(VALU_DEP_2)
	v_add_co_ci_u32_e64 v5, null, v1, v3, vcc_lo
	flat_load_b128 v[0:3], v[86:87] offset:592
	s_wait_loadcnt_dscnt 0x0
	;; [unrolled: 44-line block ×7, first 2 shown]
	flat_store_b128 v[4:5], v[0:3]
	flat_load_b32 v0, v[86:87] offset:776
	s_clause 0x7
	scratch_load_b128 v[8:11], off, s33 offset:768
	scratch_load_b128 v[12:15], off, s33 offset:784
	;; [unrolled: 1-line block ×8, first 2 shown]
	s_wait_loadcnt_dscnt 0x800
	v_add_nc_u32_e32 v103, -7, v0
	flat_load_b64 v[0:1], v[86:87] offset:760
	s_clause 0x1
	flat_store_b32 v[86:87], v103 offset:776
	flat_store_b64 v[86:87], v[102:103] offset:760
	s_wait_loadcnt_dscnt 0x2
	v_sub_nc_u32_e32 v3, v103, v1
	flat_load_b64 v[1:2], v[86:87] offset:744
	s_wait_loadcnt_dscnt 0x0
	v_add_nc_u32_e32 v4, v1, v3
	v_sub_nc_u32_e32 v5, v2, v0
	flat_load_b96 v[0:2], v[86:87] offset:728
	v_ashrrev_i32_e32 v3, 31, v4
	flat_store_b64 v[86:87], v[4:5] offset:744
	v_lshrrev_b32_e32 v3, 29, v3
	s_delay_alu instid0(VALU_DEP_1) | instskip(NEXT) | instid1(VALU_DEP_1)
	v_add_nc_u32_e32 v3, v4, v3
	v_and_b32_e32 v3, -8, v3
	s_delay_alu instid0(VALU_DEP_1) | instskip(NEXT) | instid1(VALU_DEP_1)
	v_sub_nc_u32_e32 v3, v4, v3
	v_xor_b32_e32 v3, v5, v3
	s_wait_loadcnt_dscnt 0x1
	v_sub_nc_u32_e32 v2, v4, v2
	s_delay_alu instid0(VALU_DEP_2) | instskip(NEXT) | instid1(VALU_DEP_2)
	v_sub_nc_u32_e32 v1, v3, v1
	v_lshlrev_b32_e32 v2, 7, v2
	s_delay_alu instid0(VALU_DEP_2) | instskip(NEXT) | instid1(VALU_DEP_1)
	v_lshlrev_b32_e32 v1, 4, v1
	v_add3_u32 v2, v2, v1, v0
	flat_store_b96 v[86:87], v[2:4] offset:728
	s_clause 0x1
	flat_load_b128 v[4:7], v[52:53] offset:144
	flat_load_b128 v[0:3], v[52:53] offset:128
	s_wait_loadcnt_dscnt 0x0
	v_wmma_f32_16x16x16_fp8_fp8 v[0:7], v[116:117], v[8:9], v[0:7]
	s_delay_alu instid0(VALU_DEP_1) | instskip(SKIP_2) | instid1(VALU_DEP_1)
	v_wmma_f32_16x16x16_fp8_fp8 v[0:7], v[118:119], v[10:11], v[0:7]
	flat_load_b128 v[8:11], v[52:53] offset:160
	v_wmma_f32_16x16x16_fp8_fp8 v[0:7], v[128:129], v[12:13], v[0:7]
	v_wmma_f32_16x16x16_fp8_fp8 v[0:7], v[130:131], v[14:15], v[0:7]
	flat_load_b128 v[12:15], v[52:53] offset:176
	s_wait_loadcnt_dscnt 0x0
	v_wmma_f32_16x16x16_fp8_fp8 v[8:15], v[116:117], v[16:17], v[8:15]
	s_delay_alu instid0(VALU_DEP_1) | instskip(SKIP_2) | instid1(VALU_DEP_1)
	v_wmma_f32_16x16x16_fp8_fp8 v[8:15], v[118:119], v[18:19], v[8:15]
	flat_load_b128 v[16:19], v[52:53] offset:192
	v_wmma_f32_16x16x16_fp8_fp8 v[8:15], v[128:129], v[20:21], v[8:15]
	v_wmma_f32_16x16x16_fp8_fp8 v[8:15], v[130:131], v[22:23], v[8:15]
	;; [unrolled: 8-line block ×3, first 2 shown]
	flat_load_b128 v[28:31], v[52:53] offset:240
	s_wait_loadcnt_dscnt 0x0
	v_wmma_f32_16x16x16_fp8_fp8 v[24:31], v[116:117], v[32:33], v[24:31]
	s_delay_alu instid0(VALU_DEP_1) | instskip(SKIP_2) | instid1(VALU_DEP_1)
	v_wmma_f32_16x16x16_fp8_fp8 v[24:31], v[118:119], v[34:35], v[24:31]
	scratch_load_b128 v[32:35], off, s33 offset:800
	v_wmma_f32_16x16x16_fp8_fp8 v[24:31], v[128:129], v[36:37], v[24:31]
	v_wmma_f32_16x16x16_fp8_fp8 v[24:31], v[130:131], v[38:39], v[24:31]
	scratch_load_b128 v[36:39], off, s33 offset:816
	s_wait_loadcnt 0x1
	v_wmma_f32_16x16x16_fp8_fp8 v[0:7], v[98:99], v[32:33], v[0:7]
	s_delay_alu instid0(VALU_DEP_1) | instskip(SKIP_1) | instid1(VALU_DEP_1)
	v_wmma_f32_16x16x16_fp8_fp8 v[0:7], v[100:101], v[34:35], v[0:7]
	s_wait_loadcnt 0x0
	v_wmma_f32_16x16x16_fp8_fp8 v[0:7], v[112:113], v[36:37], v[0:7]
	s_delay_alu instid0(VALU_DEP_1)
	v_wmma_f32_16x16x16_fp8_fp8 v[0:7], v[114:115], v[38:39], v[0:7]
	flat_store_b128 v[52:53], v[0:3] offset:128
	scratch_load_b128 v[0:3], off, s33 offset:864
	flat_store_b128 v[52:53], v[4:7] offset:144
	scratch_load_b128 v[4:7], off, s33 offset:880
	s_wait_loadcnt 0x1
	v_nop
	v_wmma_f32_16x16x16_fp8_fp8 v[8:15], v[98:99], v[0:1], v[8:15]
	s_delay_alu instid0(VALU_DEP_1) | instskip(SKIP_3) | instid1(VALU_DEP_1)
	v_wmma_f32_16x16x16_fp8_fp8 v[8:15], v[100:101], v[2:3], v[8:15]
	scratch_load_b128 v[0:3], off, s33 offset:928
	s_wait_loadcnt 0x1
	v_wmma_f32_16x16x16_fp8_fp8 v[8:15], v[112:113], v[4:5], v[8:15]
	v_wmma_f32_16x16x16_fp8_fp8 v[8:15], v[114:115], v[6:7], v[8:15]
	scratch_load_b128 v[4:7], off, s33 offset:944
	s_clause 0x1
	flat_store_b128 v[52:53], v[12:15] offset:176
	flat_store_b128 v[52:53], v[8:11] offset:160
	s_wait_loadcnt 0x1
	v_wmma_f32_16x16x16_fp8_fp8 v[16:23], v[98:99], v[0:1], v[16:23]
	s_delay_alu instid0(VALU_DEP_1) | instskip(SKIP_3) | instid1(VALU_DEP_1)
	v_wmma_f32_16x16x16_fp8_fp8 v[16:23], v[100:101], v[2:3], v[16:23]
	scratch_load_b128 v[0:3], off, s33 offset:992
	s_wait_loadcnt 0x1
	v_wmma_f32_16x16x16_fp8_fp8 v[16:23], v[112:113], v[4:5], v[16:23]
	v_wmma_f32_16x16x16_fp8_fp8 v[16:23], v[114:115], v[6:7], v[16:23]
	scratch_load_b128 v[4:7], off, s33 offset:1008
	s_clause 0x1
	flat_store_b128 v[52:53], v[20:23] offset:208
	flat_store_b128 v[52:53], v[16:19] offset:192
	s_wait_loadcnt 0x1
	v_wmma_f32_16x16x16_fp8_fp8 v[24:31], v[98:99], v[0:1], v[24:31]
	s_delay_alu instid0(VALU_DEP_1) | instskip(SKIP_1) | instid1(VALU_DEP_1)
	v_wmma_f32_16x16x16_fp8_fp8 v[24:31], v[100:101], v[2:3], v[24:31]
	s_wait_loadcnt 0x0
	v_wmma_f32_16x16x16_fp8_fp8 v[24:31], v[112:113], v[4:5], v[24:31]
	s_delay_alu instid0(VALU_DEP_1)
	v_wmma_f32_16x16x16_fp8_fp8 v[24:31], v[114:115], v[6:7], v[24:31]
	s_clause 0x1
	flat_store_b128 v[52:53], v[28:31] offset:240
	flat_store_b128 v[52:53], v[24:27] offset:224
	s_clause 0x3
	flat_load_b64 v[7:8], v[64:65] offset:1148
	flat_load_b64 v[9:10], v[64:65] offset:1164
	flat_load_b128 v[0:3], v[64:65] offset:1176
	flat_load_b96 v[4:6], v[64:65] offset:1132
	s_wait_loadcnt_dscnt 0x202
	v_sub_nc_u32_e32 v7, v7, v10
	s_wait_loadcnt_dscnt 0x101
	v_add_nc_u32_e32 v0, v9, v0
	s_wait_loadcnt_dscnt 0x0
	v_sub_nc_u32_e32 v2, v4, v2
	v_add3_u32 v1, v7, v1, 64
	v_sub_nc_u32_e32 v7, v8, v9
	v_sub_nc_u32_e32 v8, v8, v0
	s_delay_alu instid0(VALU_DEP_3) | instskip(NEXT) | instid1(VALU_DEP_1)
	v_ashrrev_i32_e32 v10, 31, v1
	v_lshrrev_b32_e32 v10, 29, v10
	s_delay_alu instid0(VALU_DEP_1) | instskip(NEXT) | instid1(VALU_DEP_1)
	v_add_nc_u32_e32 v10, v1, v10
	v_and_b32_e32 v10, -8, v10
	s_delay_alu instid0(VALU_DEP_1) | instskip(SKIP_1) | instid1(VALU_DEP_2)
	v_sub_nc_u32_e32 v12, v1, v10
	v_sub_nc_u32_e32 v1, v1, v6
	v_xor_b32_e32 v7, v12, v7
	s_delay_alu instid0(VALU_DEP_2) | instskip(NEXT) | instid1(VALU_DEP_2)
	v_lshlrev_b32_e32 v1, 7, v1
	v_sub_nc_u32_e32 v6, v7, v5
	s_delay_alu instid0(VALU_DEP_2) | instskip(NEXT) | instid1(VALU_DEP_2)
	v_add_nc_u32_e32 v2, v2, v1
	v_lshlrev_b32_e32 v6, 4, v6
	s_delay_alu instid0(VALU_DEP_1)
	v_add3_u32 v10, v1, v4, v6
	flat_load_b64 v[6:7], v[54:55] offset:16
	v_ashrrev_i32_e32 v11, 31, v10
	s_wait_loadcnt_dscnt 0x0
	v_add_co_u32 v10, vcc_lo, v6, v10
	s_wait_alu 0xfffd
	s_delay_alu instid0(VALU_DEP_2) | instskip(SKIP_2) | instid1(VALU_DEP_1)
	v_add_co_ci_u32_e64 v11, null, v7, v11, vcc_lo
	flat_load_b128 v[116:119], v[10:11]
	v_add_nc_u32_e32 v10, 16, v3
	v_ashrrev_i32_e32 v11, 31, v10
	s_delay_alu instid0(VALU_DEP_1) | instskip(NEXT) | instid1(VALU_DEP_1)
	v_lshrrev_b32_e32 v11, 28, v11
	v_add_nc_u32_e32 v11, v10, v11
	s_delay_alu instid0(VALU_DEP_1) | instskip(SKIP_1) | instid1(VALU_DEP_2)
	v_lshrrev_b32_e32 v13, 4, v11
	v_and_b32_e32 v11, -16, v11
	v_add_nc_u32_e32 v0, v13, v8
	s_delay_alu instid0(VALU_DEP_2) | instskip(NEXT) | instid1(VALU_DEP_2)
	v_sub_nc_u32_e32 v10, v10, v11
	v_xor_b32_e32 v0, v0, v12
	s_delay_alu instid0(VALU_DEP_1) | instskip(NEXT) | instid1(VALU_DEP_1)
	v_sub_nc_u32_e32 v0, v0, v5
	v_lshlrev_b32_e32 v0, 4, v0
	s_delay_alu instid0(VALU_DEP_1) | instskip(NEXT) | instid1(VALU_DEP_1)
	v_add3_u32 v0, v10, v2, v0
	v_ashrrev_i32_e32 v1, 31, v0
	v_add_co_u32 v0, vcc_lo, v6, v0
	s_wait_alu 0xfffd
	s_delay_alu instid0(VALU_DEP_2) | instskip(SKIP_2) | instid1(VALU_DEP_1)
	v_add_co_ci_u32_e64 v1, null, v7, v1, vcc_lo
	flat_load_b128 v[128:131], v[0:1]
	v_add_nc_u32_e32 v0, 64, v3
	v_ashrrev_i32_e32 v1, 31, v0
	s_delay_alu instid0(VALU_DEP_1) | instskip(NEXT) | instid1(VALU_DEP_1)
	v_lshrrev_b32_e32 v1, 28, v1
	v_add_nc_u32_e32 v1, v0, v1
	s_delay_alu instid0(VALU_DEP_1) | instskip(SKIP_1) | instid1(VALU_DEP_1)
	v_lshrrev_b32_e32 v4, 4, v1
	v_and_b32_e32 v1, -16, v1
	v_sub_nc_u32_e32 v0, v0, v1
	s_delay_alu instid0(VALU_DEP_3) | instskip(NEXT) | instid1(VALU_DEP_1)
	v_add_nc_u32_e32 v1, v4, v8
	v_xor_b32_e32 v1, v1, v12
	s_delay_alu instid0(VALU_DEP_1) | instskip(NEXT) | instid1(VALU_DEP_1)
	v_sub_nc_u32_e32 v1, v1, v5
	v_lshlrev_b32_e32 v1, 4, v1
	s_delay_alu instid0(VALU_DEP_1) | instskip(NEXT) | instid1(VALU_DEP_1)
	v_add3_u32 v0, v0, v2, v1
	v_ashrrev_i32_e32 v1, 31, v0
	v_add_co_u32 v0, vcc_lo, v6, v0
	s_wait_alu 0xfffd
	s_delay_alu instid0(VALU_DEP_2) | instskip(SKIP_2) | instid1(VALU_DEP_1)
	v_add_co_ci_u32_e64 v1, null, v7, v1, vcc_lo
	flat_load_b128 v[98:101], v[0:1]
	v_add_nc_u32_e32 v0, 0x50, v3
	v_ashrrev_i32_e32 v1, 31, v0
	s_delay_alu instid0(VALU_DEP_1) | instskip(NEXT) | instid1(VALU_DEP_1)
	v_lshrrev_b32_e32 v1, 28, v1
	v_add_nc_u32_e32 v1, v0, v1
	s_delay_alu instid0(VALU_DEP_1) | instskip(SKIP_1) | instid1(VALU_DEP_1)
	v_lshrrev_b32_e32 v3, 4, v1
	v_and_b32_e32 v1, -16, v1
	v_sub_nc_u32_e32 v0, v0, v1
	s_delay_alu instid0(VALU_DEP_3) | instskip(SKIP_1) | instid1(VALU_DEP_2)
	v_add_nc_u32_e32 v1, v3, v8
	v_mov_b32_e32 v3, s7
	v_xor_b32_e32 v1, v1, v12
	s_delay_alu instid0(VALU_DEP_1) | instskip(NEXT) | instid1(VALU_DEP_1)
	v_sub_nc_u32_e32 v1, v1, v5
	v_lshlrev_b32_e32 v1, 4, v1
	s_delay_alu instid0(VALU_DEP_1) | instskip(SKIP_1) | instid1(VALU_DEP_2)
	v_add3_u32 v0, v0, v2, v1
	v_mov_b32_e32 v2, s6
	v_ashrrev_i32_e32 v1, 31, v0
	v_add_co_u32 v0, vcc_lo, v6, v0
	s_wait_alu 0xfffd
	s_delay_alu instid0(VALU_DEP_2)
	v_add_co_ci_u32_e64 v1, null, v7, v1, vcc_lo
	flat_load_b128 v[112:115], v[0:1]
	v_dual_mov_b32 v0, s5 :: v_dual_mov_b32 v1, s1
	s_wait_alu 0xfffe
	s_swappc_b64 s[30:31], s[2:3]
	; sched_group_barrier mask(0x00000008) size(3) SyncID(0)
	; sched_group_barrier mask(0x00000200) size(1) SyncID(0)
	;; [unrolled: 1-line block ×24, first 2 shown]
	; sched_barrier mask(0x00000000)
	flat_store_b8 v[86:87], v135 offset:288
	flat_load_b128 v[0:3], v[84:85]
	flat_load_b64 v[11:12], v[86:87] offset:704
	s_wait_loadcnt_dscnt 0x101
	v_mov_b32_e32 v3, v133
	s_mov_b32 s2, exec_lo
	v_and_b32_e32 v1, 0xffff, v1
.LBB6_123:                              ;   Parent Loop BB6_64 Depth=1
                                        ; =>  This Inner Loop Header: Depth=2
	v_readfirstlane_b32 s8, v0
	s_delay_alu instid0(VALU_DEP_2) | instskip(SKIP_3) | instid1(VALU_DEP_3)
	v_readfirstlane_b32 s9, v1
	v_readfirstlane_b32 s10, v2
	;; [unrolled: 1-line block ×3, first 2 shown]
	s_wait_alu 0xf1ff
	v_cmp_eq_u64_e32 vcc_lo, s[8:9], v[0:1]
	s_delay_alu instid0(VALU_DEP_2)
	v_cmp_eq_u64_e64 s0, s[10:11], v[2:3]
	s_and_b32 s0, vcc_lo, s0
	s_wait_alu 0xfffe
	s_and_saveexec_b32 s0, s0
	s_wait_loadcnt_dscnt 0x0
	buffer_load_b128 v[4:7], v11, s[8:11], null offen
                                        ; implicit-def: $vgpr0_vgpr1_vgpr2_vgpr3
	s_xor_b32 exec_lo, exec_lo, s0
	s_cbranch_execnz .LBB6_123
; %bb.124:                              ;   in Loop: Header=BB6_64 Depth=1
	s_mov_b32 exec_lo, s2
	flat_load_b96 v[8:10], v[86:87] offset:716
	v_add_nc_u32_e32 v1, 1, v12
	s_mov_b32 s2, exec_lo
	s_wait_loadcnt_dscnt 0x0
	v_add_nc_u32_e32 v0, 1, v10
	s_clause 0x2
	flat_store_b128 v[86:87], v[4:7]
	flat_store_b32 v[86:87], v0 offset:724
	flat_store_b32 v[86:87], v1 offset:708
	flat_load_b32 v0, v[96:97] offset:8
	s_wait_loadcnt_dscnt 0x0
	v_add_nc_u32_e32 v11, v0, v11
	s_clause 0x1
	flat_store_b32 v[86:87], v11 offset:704
	flat_store_b8 v[86:87], v135 offset:304
	flat_load_b128 v[0:3], v[84:85]
	s_wait_loadcnt_dscnt 0x0
	v_mov_b32_e32 v3, v133
	v_and_b32_e32 v1, 0xffff, v1
.LBB6_125:                              ;   Parent Loop BB6_64 Depth=1
                                        ; =>  This Inner Loop Header: Depth=2
	v_readfirstlane_b32 s8, v0
	s_delay_alu instid0(VALU_DEP_2) | instskip(SKIP_3) | instid1(VALU_DEP_3)
	v_readfirstlane_b32 s9, v1
	v_readfirstlane_b32 s10, v2
	v_readfirstlane_b32 s11, v3
	s_wait_alu 0xf1ff
	v_cmp_eq_u64_e32 vcc_lo, s[8:9], v[0:1]
	s_delay_alu instid0(VALU_DEP_2)
	v_cmp_eq_u64_e64 s0, s[10:11], v[2:3]
	s_and_b32 s0, vcc_lo, s0
	s_wait_alu 0xfffe
	s_and_saveexec_b32 s0, s0
	s_wait_loadcnt 0x0
	buffer_load_b128 v[4:7], v11, s[8:11], null offen
                                        ; implicit-def: $vgpr0_vgpr1_vgpr2_vgpr3
	s_xor_b32 exec_lo, exec_lo, s0
	s_cbranch_execnz .LBB6_125
; %bb.126:                              ;   in Loop: Header=BB6_64 Depth=1
	s_mov_b32 exec_lo, s2
	v_add_nc_u32_e32 v0, 2, v10
	v_add_nc_u32_e32 v1, 2, v12
	s_mov_b32 s2, exec_lo
	s_wait_loadcnt 0x0
	s_clause 0x2
	flat_store_b128 v[86:87], v[4:7] offset:16
	flat_store_b32 v[86:87], v0 offset:724
	flat_store_b32 v[86:87], v1 offset:708
	flat_load_b32 v0, v[96:97] offset:8
	s_wait_loadcnt_dscnt 0x0
	v_add_nc_u32_e32 v11, v0, v11
	s_clause 0x1
	flat_store_b32 v[86:87], v11 offset:704
	flat_store_b8 v[86:87], v135 offset:320
	flat_load_b128 v[0:3], v[84:85]
	s_wait_loadcnt_dscnt 0x0
	v_mov_b32_e32 v3, v133
	v_and_b32_e32 v1, 0xffff, v1
.LBB6_127:                              ;   Parent Loop BB6_64 Depth=1
                                        ; =>  This Inner Loop Header: Depth=2
	v_readfirstlane_b32 s8, v0
	s_delay_alu instid0(VALU_DEP_2) | instskip(SKIP_3) | instid1(VALU_DEP_3)
	v_readfirstlane_b32 s9, v1
	v_readfirstlane_b32 s10, v2
	v_readfirstlane_b32 s11, v3
	s_wait_alu 0xf1ff
	v_cmp_eq_u64_e32 vcc_lo, s[8:9], v[0:1]
	s_delay_alu instid0(VALU_DEP_2)
	v_cmp_eq_u64_e64 s0, s[10:11], v[2:3]
	s_and_b32 s0, vcc_lo, s0
	s_wait_alu 0xfffe
	s_and_saveexec_b32 s0, s0
	s_wait_loadcnt 0x0
	buffer_load_b128 v[4:7], v11, s[8:11], null offen
                                        ; implicit-def: $vgpr0_vgpr1_vgpr2_vgpr3
	s_xor_b32 exec_lo, exec_lo, s0
	s_cbranch_execnz .LBB6_127
; %bb.128:                              ;   in Loop: Header=BB6_64 Depth=1
	s_mov_b32 exec_lo, s2
	v_add_nc_u32_e32 v0, 3, v10
	v_add_nc_u32_e32 v1, 3, v12
	s_mov_b32 s2, exec_lo
	s_wait_loadcnt 0x0
	s_clause 0x2
	flat_store_b128 v[86:87], v[4:7] offset:32
	;; [unrolled: 39-line block ×6, first 2 shown]
	flat_store_b32 v[86:87], v0 offset:724
	flat_store_b32 v[86:87], v1 offset:708
	flat_load_b32 v0, v[96:97] offset:8
	s_wait_loadcnt_dscnt 0x0
	v_add_nc_u32_e32 v11, v0, v11
	flat_store_b32 v[86:87], v11 offset:704
	flat_load_b128 v[0:3], v[84:85]
	s_wait_loadcnt_dscnt 0x0
	v_mov_b32_e32 v3, v133
	flat_store_b8 v[86:87], v135 offset:400
	v_and_b32_e32 v1, 0xffff, v1
.LBB6_137:                              ;   Parent Loop BB6_64 Depth=1
                                        ; =>  This Inner Loop Header: Depth=2
	v_readfirstlane_b32 s8, v0
	s_delay_alu instid0(VALU_DEP_2) | instskip(SKIP_3) | instid1(VALU_DEP_3)
	v_readfirstlane_b32 s9, v1
	v_readfirstlane_b32 s10, v2
	;; [unrolled: 1-line block ×3, first 2 shown]
	s_wait_alu 0xf1ff
	v_cmp_eq_u64_e32 vcc_lo, s[8:9], v[0:1]
	s_delay_alu instid0(VALU_DEP_2)
	v_cmp_eq_u64_e64 s0, s[10:11], v[2:3]
	s_and_b32 s0, vcc_lo, s0
	s_wait_alu 0xfffe
	s_and_saveexec_b32 s0, s0
	s_wait_loadcnt 0x0
	buffer_load_b128 v[4:7], v11, s[8:11], null offen
                                        ; implicit-def: $vgpr0_vgpr1_vgpr2_vgpr3
	s_xor_b32 exec_lo, exec_lo, s0
	s_cbranch_execnz .LBB6_137
; %bb.138:                              ;   in Loop: Header=BB6_64 Depth=1
	s_mov_b32 exec_lo, s2
	s_wait_loadcnt 0x0
	flat_store_b128 v[86:87], v[4:7] offset:112
	flat_load_b96 v[0:2], v[82:83]
	s_mov_b32 s0, exec_lo
	s_wait_loadcnt_dscnt 0x0
	v_add_nc_u32_e32 v3, -7, v1
	v_add_nc_u32_e32 v4, v8, v0
	v_add_nc_u32_e32 v6, v1, v10
	;; [unrolled: 1-line block ×3, first 2 shown]
	flat_store_b96 v[86:87], v[4:6] offset:716
	v_cmpx_ne_u32_e32 0, v3
	s_cbranch_execz .LBB6_140
; %bb.139:                              ;   in Loop: Header=BB6_64 Depth=1
	v_add_nc_u32_e32 v1, v1, v12
	flat_store_b32 v[86:87], v1 offset:708
.LBB6_140:                              ;   in Loop: Header=BB6_64 Depth=1
	s_wait_alu 0xfffe
	s_or_b32 exec_lo, exec_lo, s0
	v_or_b32_e32 v4, v2, v0
	v_mov_b32_e32 v1, 0
	s_mov_b32 s0, exec_lo
	s_delay_alu instid0(VALU_DEP_2)
	v_cmpx_ne_u32_e32 0, v4
	s_cbranch_execz .LBB6_142
; %bb.141:                              ;   in Loop: Header=BB6_64 Depth=1
	flat_load_b32 v5, v[96:97] offset:24
	flat_load_b32 v6, v[86:87] offset:712
	v_mov_b32_e32 v1, v2
	s_wait_loadcnt_dscnt 0x101
	s_delay_alu instid0(VALU_DEP_1) | instskip(SKIP_1) | instid1(VALU_DEP_1)
	v_mad_co_u64_u32 v[1:2], null, v5, v0, v[1:2]
	s_wait_loadcnt_dscnt 0x0
	v_add_nc_u32_e32 v0, v1, v6
	flat_store_b32 v[86:87], v0 offset:712
.LBB6_142:                              ;   in Loop: Header=BB6_64 Depth=1
	s_wait_alu 0xfffe
	s_or_b32 exec_lo, exec_lo, s0
	v_or_b32_e32 v0, v4, v3
	s_mov_b32 s0, exec_lo
	s_delay_alu instid0(VALU_DEP_1)
	v_cmpx_ne_u32_e32 0, v0
	s_cbranch_execz .LBB6_63
; %bb.143:                              ;   in Loop: Header=BB6_64 Depth=1
	flat_load_b32 v0, v[96:97] offset:8
	s_wait_loadcnt_dscnt 0x0
	v_mul_lo_u32 v0, v0, v3
	s_delay_alu instid0(VALU_DEP_1)
	v_add3_u32 v0, v1, v11, v0
	flat_store_b32 v[86:87], v0 offset:704
	s_branch .LBB6_63
.LBB6_144:
	s_or_b32 exec_lo, exec_lo, s4
	scratch_load_b128 v[32:35], off, s33 offset:512
	s_clause 0x1
	flat_load_b128 v[4:7], v[52:53] offset:16
	flat_load_b128 v[0:3], v[52:53]
	scratch_load_b128 v[36:39], off, s33 offset:576
	s_clause 0x1
	flat_load_b128 v[12:15], v[52:53] offset:48
	flat_load_b128 v[8:11], v[52:53] offset:32
	s_clause 0x2
	scratch_load_b128 v[48:51], off, s33 offset:528
	scratch_load_b128 v[66:69], off, s33 offset:592
	scratch_load_b128 v[80:83], off, s33 offset:640
	s_clause 0x1
	flat_load_b128 v[20:23], v[52:53] offset:80
	flat_load_b128 v[16:19], v[52:53] offset:64
	scratch_load_b128 v[84:87], off, s33 offset:704
	s_clause 0x1
	flat_load_b128 v[28:31], v[52:53] offset:112
	flat_load_b128 v[24:27], v[52:53] offset:96
	s_clause 0x2
	scratch_load_b128 v[132:135], off, s33 offset:656
	scratch_load_b128 v[144:147], off, s33 offset:720
	;; [unrolled: 1-line block ×3, first 2 shown]
	s_wait_loadcnt_dscnt 0xe06
	v_wmma_f32_16x16x16_fp8_fp8 v[0:7], v[116:117], v[32:33], v[0:7]
	s_wait_loadcnt_dscnt 0xb04
	v_wmma_f32_16x16x16_fp8_fp8 v[8:15], v[116:117], v[36:37], v[8:15]
	s_delay_alu instid0(VALU_DEP_2)
	v_wmma_f32_16x16x16_fp8_fp8 v[0:7], v[118:119], v[34:35], v[0:7]
	scratch_load_b128 v[32:35], off, s33 offset:608
	v_wmma_f32_16x16x16_fp8_fp8 v[8:15], v[118:119], v[38:39], v[8:15]
	scratch_load_b128 v[36:39], off, s33 offset:560
	s_wait_loadcnt 0xc
	v_wmma_f32_16x16x16_fp8_fp8 v[0:7], v[128:129], v[48:49], v[0:7]
	s_wait_loadcnt 0xb
	v_wmma_f32_16x16x16_fp8_fp8 v[8:15], v[128:129], v[66:67], v[8:15]
	s_delay_alu instid0(VALU_DEP_2)
	v_wmma_f32_16x16x16_fp8_fp8 v[0:7], v[130:131], v[50:51], v[0:7]
	scratch_load_b128 v[48:51], off, s33 offset:624
	v_wmma_f32_16x16x16_fp8_fp8 v[8:15], v[130:131], v[68:69], v[8:15]
	s_wait_loadcnt_dscnt 0x902
	v_wmma_f32_16x16x16_fp8_fp8 v[16:23], v[116:117], v[80:81], v[16:23]
	scratch_load_b128 v[66:69], off, s33 offset:672
	s_wait_loadcnt_dscnt 0x700
	v_wmma_f32_16x16x16_fp8_fp8 v[24:31], v[116:117], v[84:85], v[24:31]
	; sched_group_barrier mask(0x00000008) size(8) SyncID(0)
	; sched_group_barrier mask(0x00000100) size(1) SyncID(0)
	v_wmma_f32_16x16x16_fp8_fp8 v[16:23], v[118:119], v[82:83], v[16:23]
	scratch_load_b128 v[80:83], off, s33 offset:736
	v_wmma_f32_16x16x16_fp8_fp8 v[24:31], v[118:119], v[86:87], v[24:31]
	s_clause 0x1
	scratch_load_b128 v[84:87], off, s33 offset:688
	scratch_load_b128 v[116:119], off, s33 offset:752
	s_wait_loadcnt 0x9
	v_wmma_f32_16x16x16_fp8_fp8 v[16:23], v[128:129], v[132:133], v[16:23]
	s_wait_loadcnt 0x8
	v_wmma_f32_16x16x16_fp8_fp8 v[24:31], v[128:129], v[144:145], v[24:31]
	s_delay_alu instid0(VALU_DEP_2) | instskip(NEXT) | instid1(VALU_DEP_2)
	v_wmma_f32_16x16x16_fp8_fp8 v[16:23], v[130:131], v[134:135], v[16:23]
	v_wmma_f32_16x16x16_fp8_fp8 v[24:31], v[130:131], v[146:147], v[24:31]
	s_wait_loadcnt 0x7
	v_wmma_f32_16x16x16_fp8_fp8 v[0:7], v[98:99], v[148:149], v[0:7]
	; sched_group_barrier mask(0x00000008) size(8) SyncID(0)
	; sched_group_barrier mask(0x00000100) size(1) SyncID(0)
	s_delay_alu instid0(VALU_DEP_1) | instskip(SKIP_3) | instid1(VALU_DEP_2)
	v_wmma_f32_16x16x16_fp8_fp8 v[0:7], v[100:101], v[150:151], v[0:7]
	s_wait_loadcnt 0x6
	v_wmma_f32_16x16x16_fp8_fp8 v[8:15], v[98:99], v[32:33], v[8:15]
	s_wait_loadcnt 0x5
	v_wmma_f32_16x16x16_fp8_fp8 v[0:7], v[112:113], v[36:37], v[0:7]
	s_delay_alu instid0(VALU_DEP_2)
	v_wmma_f32_16x16x16_fp8_fp8 v[8:15], v[100:101], v[34:35], v[8:15]
	scratch_load_b128 v[32:35], off, s33
	v_wmma_f32_16x16x16_fp8_fp8 v[0:7], v[114:115], v[38:39], v[0:7]
	s_wait_loadcnt 0x5
	v_wmma_f32_16x16x16_fp8_fp8 v[8:15], v[112:113], v[48:49], v[8:15]
	s_clause 0x1
	flat_store_b128 v[52:53], v[0:3]
	flat_store_b128 v[52:53], v[4:7] offset:16
	v_wmma_f32_16x16x16_fp8_fp8 v[8:15], v[114:115], v[50:51], v[8:15]
	s_wait_loadcnt 0x4
	v_wmma_f32_16x16x16_fp8_fp8 v[16:23], v[98:99], v[66:67], v[16:23]
	; sched_group_barrier mask(0x00000008) size(8) SyncID(0)
	; sched_group_barrier mask(0x00000100) size(1) SyncID(0)
	s_wait_loadcnt 0x3
	v_wmma_f32_16x16x16_fp8_fp8 v[24:31], v[98:99], v[80:81], v[24:31]
	flat_store_b128 v[52:53], v[8:11] offset:32
	v_wmma_f32_16x16x16_fp8_fp8 v[16:23], v[100:101], v[68:69], v[16:23]
	flat_store_b128 v[52:53], v[12:15] offset:48
	v_wmma_f32_16x16x16_fp8_fp8 v[24:31], v[100:101], v[82:83], v[24:31]
	s_wait_loadcnt 0x2
	v_wmma_f32_16x16x16_fp8_fp8 v[16:23], v[112:113], v[84:85], v[16:23]
	s_wait_loadcnt 0x1
	s_delay_alu instid0(VALU_DEP_2) | instskip(NEXT) | instid1(VALU_DEP_2)
	v_wmma_f32_16x16x16_fp8_fp8 v[24:31], v[112:113], v[116:117], v[24:31]
	v_wmma_f32_16x16x16_fp8_fp8 v[16:23], v[114:115], v[86:87], v[16:23]
	s_delay_alu instid0(VALU_DEP_2)
	v_wmma_f32_16x16x16_fp8_fp8 v[24:31], v[114:115], v[118:119], v[24:31]
	; sched_group_barrier mask(0x00000008) size(8) SyncID(0)
	; sched_group_barrier mask(0x00000100) size(1) SyncID(0)
	s_clause 0x3
	flat_store_b128 v[52:53], v[20:23] offset:80
	flat_store_b128 v[52:53], v[16:19] offset:64
	;; [unrolled: 1-line block ×4, first 2 shown]
	s_clause 0x3
	flat_load_b64 v[7:8], v[64:65] offset:1148
	flat_load_b64 v[9:10], v[64:65] offset:1164
	flat_load_b128 v[0:3], v[64:65] offset:1176
	flat_load_b96 v[4:6], v[64:65] offset:1132
	flat_load_b64 v[11:12], v[54:55]
	s_wait_loadcnt 0x5
	v_ashrrev_i32_e32 v28, 8, v33
	v_ashrrev_i32_e32 v29, 24, v33
	;; [unrolled: 1-line block ×28, first 2 shown]
	s_wait_loadcnt_dscnt 0x303
	v_sub_nc_u32_e32 v7, v7, v10
	s_wait_loadcnt_dscnt 0x202
	v_add_nc_u32_e32 v13, 16, v3
	v_add_nc_u32_e32 v0, v9, v0
	v_sub_nc_u32_e32 v10, v8, v9
	s_wait_loadcnt_dscnt 0x101
	v_sub_nc_u32_e32 v2, v4, v2
	v_add3_u32 v1, v7, v1, 32
	v_add_nc_u32_e32 v7, 64, v3
	v_add_nc_u32_e32 v3, 0x50, v3
	v_ashrrev_i32_e32 v9, 31, v13
	v_sub_nc_u32_e32 v0, v8, v0
	v_ashrrev_i32_e32 v8, 31, v1
	v_ashrrev_i32_e32 v14, 31, v7
	;; [unrolled: 1-line block ×3, first 2 shown]
	v_lshrrev_b32_e32 v9, 28, v9
	v_sub_nc_u32_e32 v6, v1, v6
	v_lshrrev_b32_e32 v8, 29, v8
	v_lshrrev_b32_e32 v14, 28, v14
	;; [unrolled: 1-line block ×3, first 2 shown]
	v_add_nc_u32_e32 v9, v13, v9
	v_lshlrev_b32_e32 v6, 7, v6
	v_add_nc_u32_e32 v8, v1, v8
	v_add_nc_u32_e32 v14, v7, v14
	;; [unrolled: 1-line block ×3, first 2 shown]
	v_lshrrev_b32_e32 v16, 4, v9
	v_and_b32_e32 v9, -16, v9
	v_and_b32_e32 v8, -8, v8
	v_lshrrev_b32_e32 v17, 4, v14
	v_lshrrev_b32_e32 v18, 4, v15
	v_and_b32_e32 v14, -16, v14
	v_sub_nc_u32_e32 v9, v13, v9
	v_sub_nc_u32_e32 v1, v1, v8
	v_and_b32_e32 v8, -16, v15
	v_add_nc_u32_e32 v15, v16, v0
	v_add_nc_u32_e32 v16, v17, v0
	;; [unrolled: 1-line block ×3, first 2 shown]
	v_xor_b32_e32 v10, v1, v10
	v_add_nc_u32_e32 v2, v2, v6
	v_xor_b32_e32 v13, v15, v1
	v_xor_b32_e32 v15, v16, v1
	;; [unrolled: 1-line block ×3, first 2 shown]
	v_sub_nc_u32_e32 v1, v10, v5
	v_sub_nc_u32_e32 v7, v7, v14
	v_sub_nc_u32_e32 v10, v13, v5
	v_sub_nc_u32_e32 v13, v15, v5
	v_sub_nc_u32_e32 v0, v0, v5
	v_lshlrev_b32_e32 v1, 4, v1
	v_sub_nc_u32_e32 v3, v3, v8
	v_lshlrev_b32_e32 v5, 4, v10
	v_lshlrev_b32_e32 v8, 4, v13
	;; [unrolled: 1-line block ×3, first 2 shown]
	v_add3_u32 v1, v6, v4, v1
	s_delay_alu instid0(VALU_DEP_4) | instskip(NEXT) | instid1(VALU_DEP_4)
	v_add3_u32 v4, v9, v2, v5
	v_add3_u32 v5, v7, v2, v8
	s_delay_alu instid0(VALU_DEP_4) | instskip(NEXT) | instid1(VALU_DEP_4)
	v_add3_u32 v3, v3, v2, v0
	v_ashrrev_i32_e32 v7, 31, v1
	s_wait_loadcnt_dscnt 0x0
	v_add_co_u32 v0, vcc_lo, v11, v1
	v_ashrrev_i32_e32 v8, 31, v4
	v_ashrrev_i32_e32 v9, 31, v5
	;; [unrolled: 1-line block ×3, first 2 shown]
	v_add_co_u32 v2, s0, v11, v4
	v_add_co_u32 v4, s1, v11, v5
	;; [unrolled: 1-line block ×3, first 2 shown]
	s_wait_alu 0xfffd
	v_add_co_ci_u32_e64 v1, null, v12, v7, vcc_lo
	s_wait_alu 0xf1ff
	v_add_co_ci_u32_e64 v3, null, v12, v8, s0
	v_add_co_ci_u32_e64 v5, null, v12, v9, s1
	;; [unrolled: 1-line block ×3, first 2 shown]
	s_clause 0x3
	flat_load_b128 v[16:19], v[0:1]
	flat_load_b128 v[12:15], v[2:3]
	;; [unrolled: 1-line block ×4, first 2 shown]
	;;#ASMSTART
	v_cvt_off_f32_i4 v32, v32
	;;#ASMEND
	;;#ASMSTART
	v_cvt_off_f32_i4 v82, v20
	;;#ASMEND
	;; [unrolled: 3-line block ×32, first 2 shown]
	scratch_load_b128 v[0:3], off, s33 offset:64
	v_dual_mov_b32 v20, 0 :: v_dual_mov_b32 v21, 0
	v_dual_mov_b32 v22, 0 :: v_dual_mov_b32 v23, 0
	v_dual_mov_b32 v24, 0 :: v_dual_mov_b32 v25, 0
	v_dual_mov_b32 v26, 0 :: v_dual_mov_b32 v27, 0
	s_delay_alu instid0(VALU_DEP_4)
	v_cvt_pk_fp8_f32 v20, v32, v82
	v_cvt_pk_fp8_f32 v21, v83, v84
	;; [unrolled: 1-line block ×8, first 2 shown]
	v_cvt_pk_fp8_f32 v20, v85, v86 op_sel:[0,0,1]
	v_cvt_pk_fp8_f32 v21, v87, v96 op_sel:[0,0,1]
	;; [unrolled: 1-line block ×8, first 2 shown]
	s_clause 0x1
	scratch_store_b128 off, v[20:23], s33 offset:512
	scratch_store_b128 off, v[24:27], s33 offset:528
	s_wait_loadcnt 0x0
	;;#ASMSTART
	v_cvt_off_f32_i4 v28, v0
	;;#ASMEND
	v_ashrrev_i32_e32 v20, 16, v0
	v_ashrrev_i32_e32 v21, 8, v0
	;; [unrolled: 1-line block ×28, first 2 shown]
	;;#ASMSTART
	v_cvt_off_f32_i4 v70, v20
	;;#ASMEND
	;;#ASMSTART
	v_cvt_off_f32_i4 v71, v21
	;;#ASMEND
	;; [unrolled: 3-line block ×31, first 2 shown]
	scratch_load_b128 v[0:3], off, s33 offset:128
	v_dual_mov_b32 v20, 0 :: v_dual_mov_b32 v21, 0
	v_dual_mov_b32 v22, 0 :: v_dual_mov_b32 v23, 0
	;; [unrolled: 1-line block ×4, first 2 shown]
	s_delay_alu instid0(VALU_DEP_4)
	v_cvt_pk_fp8_f32 v20, v28, v70
	v_cvt_pk_fp8_f32 v21, v71, v80
	;; [unrolled: 1-line block ×8, first 2 shown]
	v_cvt_pk_fp8_f32 v20, v81, v82 op_sel:[0,0,1]
	v_cvt_pk_fp8_f32 v21, v83, v84 op_sel:[0,0,1]
	v_cvt_pk_fp8_f32 v22, v30, v31 op_sel:[0,0,1]
	v_cvt_pk_fp8_f32 v23, v32, v33 op_sel:[0,0,1]
	v_cvt_pk_fp8_f32 v24, v37, v38 op_sel:[0,0,1]
	v_cvt_pk_fp8_f32 v25, v39, v48 op_sel:[0,0,1]
	v_cvt_pk_fp8_f32 v26, v66, v67 op_sel:[0,0,1]
	v_cvt_pk_fp8_f32 v27, v68, v69 op_sel:[0,0,1]
	s_clause 0x1
	scratch_store_b128 off, v[20:23], s33 offset:576
	scratch_store_b128 off, v[24:27], s33 offset:592
	s_wait_loadcnt 0x0
	;;#ASMSTART
	v_cvt_off_f32_i4 v28, v0
	;;#ASMEND
	v_ashrrev_i32_e32 v20, 16, v0
	v_ashrrev_i32_e32 v21, 8, v0
	v_ashrrev_i32_e32 v22, 24, v0
	v_ashrrev_i32_e32 v23, 4, v0
	v_ashrrev_i32_e32 v24, 20, v0
	v_ashrrev_i32_e32 v25, 12, v0
	v_ashrrev_i32_e32 v0, 28, v0
	v_ashrrev_i32_e32 v29, 24, v1
	v_ashrrev_i32_e32 v30, 4, v1
	v_ashrrev_i32_e32 v31, 20, v1
	v_ashrrev_i32_e32 v32, 12, v1
	v_ashrrev_i32_e32 v33, 28, v1
	v_ashrrev_i32_e32 v34, 16, v2
	v_ashrrev_i32_e32 v35, 8, v2
	v_ashrrev_i32_e32 v36, 24, v2
	v_ashrrev_i32_e32 v37, 4, v2
	v_ashrrev_i32_e32 v38, 20, v2
	v_ashrrev_i32_e32 v39, 12, v2
	v_ashrrev_i32_e32 v48, 28, v2
	v_ashrrev_i32_e32 v49, 16, v3
	v_ashrrev_i32_e32 v50, 8, v3
	v_ashrrev_i32_e32 v51, 24, v3
	v_ashrrev_i32_e32 v66, 4, v3
	v_ashrrev_i32_e32 v67, 20, v3
	v_ashrrev_i32_e32 v68, 12, v3
	v_ashrrev_i32_e32 v69, 28, v3
	v_ashrrev_i32_e32 v26, 16, v1
	v_ashrrev_i32_e32 v27, 8, v1
	;;#ASMSTART
	v_cvt_off_f32_i4 v70, v20
	;;#ASMEND
	;;#ASMSTART
	v_cvt_off_f32_i4 v71, v21
	;;#ASMEND
	;; [unrolled: 3-line block ×31, first 2 shown]
	scratch_load_b128 v[0:3], off, s33 offset:192
	v_dual_mov_b32 v20, 0 :: v_dual_mov_b32 v21, 0
	v_dual_mov_b32 v22, 0 :: v_dual_mov_b32 v23, 0
	;; [unrolled: 1-line block ×4, first 2 shown]
	s_delay_alu instid0(VALU_DEP_4)
	v_cvt_pk_fp8_f32 v20, v28, v70
	v_cvt_pk_fp8_f32 v21, v71, v80
	;; [unrolled: 1-line block ×8, first 2 shown]
	v_cvt_pk_fp8_f32 v20, v81, v82 op_sel:[0,0,1]
	v_cvt_pk_fp8_f32 v21, v83, v84 op_sel:[0,0,1]
	v_cvt_pk_fp8_f32 v22, v30, v31 op_sel:[0,0,1]
	v_cvt_pk_fp8_f32 v23, v32, v33 op_sel:[0,0,1]
	v_cvt_pk_fp8_f32 v24, v37, v38 op_sel:[0,0,1]
	v_cvt_pk_fp8_f32 v25, v39, v48 op_sel:[0,0,1]
	v_cvt_pk_fp8_f32 v26, v66, v67 op_sel:[0,0,1]
	v_cvt_pk_fp8_f32 v27, v68, v69 op_sel:[0,0,1]
	s_clause 0x1
	scratch_store_b128 off, v[20:23], s33 offset:640
	scratch_store_b128 off, v[24:27], s33 offset:656
	s_wait_loadcnt 0x0
	;;#ASMSTART
	v_cvt_off_f32_i4 v28, v0
	;;#ASMEND
	v_ashrrev_i32_e32 v20, 16, v0
	v_ashrrev_i32_e32 v21, 8, v0
	;; [unrolled: 1-line block ×28, first 2 shown]
	;;#ASMSTART
	v_cvt_off_f32_i4 v70, v20
	;;#ASMEND
	;;#ASMSTART
	v_cvt_off_f32_i4 v71, v21
	;;#ASMEND
	;;#ASMSTART
	v_cvt_off_f32_i4 v80, v22
	;;#ASMEND
	;;#ASMSTART
	v_cvt_off_f32_i4 v81, v23
	;;#ASMEND
	;;#ASMSTART
	v_cvt_off_f32_i4 v82, v24
	;;#ASMEND
	;;#ASMSTART
	v_cvt_off_f32_i4 v83, v25
	;;#ASMEND
	;;#ASMSTART
	v_cvt_off_f32_i4 v84, v0
	;;#ASMEND
	;;#ASMSTART
	v_cvt_off_f32_i4 v85, v1
	;;#ASMEND
	;;#ASMSTART
	v_cvt_off_f32_i4 v86, v26
	;;#ASMEND
	;;#ASMSTART
	v_cvt_off_f32_i4 v87, v27
	;;#ASMEND
	;;#ASMSTART
	v_cvt_off_f32_i4 v29, v29
	;;#ASMEND
	;;#ASMSTART
	v_cvt_off_f32_i4 v30, v30
	;;#ASMEND
	;;#ASMSTART
	v_cvt_off_f32_i4 v31, v31
	;;#ASMEND
	;;#ASMSTART
	v_cvt_off_f32_i4 v32, v32
	;;#ASMEND
	;;#ASMSTART
	v_cvt_off_f32_i4 v33, v33
	;;#ASMEND
	;;#ASMSTART
	v_cvt_off_f32_i4 v96, v2
	;;#ASMEND
	;;#ASMSTART
	v_cvt_off_f32_i4 v34, v34
	;;#ASMEND
	;;#ASMSTART
	v_cvt_off_f32_i4 v35, v35
	;;#ASMEND
	;;#ASMSTART
	v_cvt_off_f32_i4 v36, v36
	;;#ASMEND
	;;#ASMSTART
	v_cvt_off_f32_i4 v37, v37
	;;#ASMEND
	;;#ASMSTART
	v_cvt_off_f32_i4 v38, v38
	;;#ASMEND
	;;#ASMSTART
	v_cvt_off_f32_i4 v39, v39
	;;#ASMEND
	;;#ASMSTART
	v_cvt_off_f32_i4 v48, v48
	;;#ASMEND
	;;#ASMSTART
	v_cvt_off_f32_i4 v97, v3
	;;#ASMEND
	;;#ASMSTART
	v_cvt_off_f32_i4 v49, v49
	;;#ASMEND
	;;#ASMSTART
	v_cvt_off_f32_i4 v50, v50
	;;#ASMEND
	;;#ASMSTART
	v_cvt_off_f32_i4 v51, v51
	;;#ASMEND
	;;#ASMSTART
	v_cvt_off_f32_i4 v66, v66
	;;#ASMEND
	;;#ASMSTART
	v_cvt_off_f32_i4 v67, v67
	;;#ASMEND
	;;#ASMSTART
	v_cvt_off_f32_i4 v68, v68
	;;#ASMEND
	;;#ASMSTART
	v_cvt_off_f32_i4 v69, v69
	;;#ASMEND
	scratch_load_b128 v[0:3], off, s33 offset:224
	v_dual_mov_b32 v20, 0 :: v_dual_mov_b32 v21, 0
	v_dual_mov_b32 v22, 0 :: v_dual_mov_b32 v23, 0
	;; [unrolled: 1-line block ×4, first 2 shown]
	s_delay_alu instid0(VALU_DEP_4)
	v_cvt_pk_fp8_f32 v20, v28, v70
	v_cvt_pk_fp8_f32 v21, v71, v80
	;; [unrolled: 1-line block ×8, first 2 shown]
	v_cvt_pk_fp8_f32 v20, v81, v82 op_sel:[0,0,1]
	v_cvt_pk_fp8_f32 v21, v83, v84 op_sel:[0,0,1]
	;; [unrolled: 1-line block ×8, first 2 shown]
	s_clause 0x1
	scratch_store_b128 off, v[20:23], s33 offset:704
	scratch_store_b128 off, v[24:27], s33 offset:720
	s_wait_loadcnt 0x0
	;;#ASMSTART
	v_cvt_off_f32_i4 v28, v0
	;;#ASMEND
	v_ashrrev_i32_e32 v20, 16, v0
	v_ashrrev_i32_e32 v21, 8, v0
	;; [unrolled: 1-line block ×28, first 2 shown]
	;;#ASMSTART
	v_cvt_off_f32_i4 v70, v20
	;;#ASMEND
	;;#ASMSTART
	v_cvt_off_f32_i4 v71, v21
	;;#ASMEND
	;; [unrolled: 3-line block ×31, first 2 shown]
	scratch_load_b128 v[0:3], off, s33 offset:160
	v_dual_mov_b32 v20, 0 :: v_dual_mov_b32 v21, 0
	v_dual_mov_b32 v22, 0 :: v_dual_mov_b32 v23, 0
	;; [unrolled: 1-line block ×4, first 2 shown]
	s_delay_alu instid0(VALU_DEP_4)
	v_cvt_pk_fp8_f32 v20, v28, v70
	v_cvt_pk_fp8_f32 v21, v71, v80
	;; [unrolled: 1-line block ×8, first 2 shown]
	v_cvt_pk_fp8_f32 v20, v81, v82 op_sel:[0,0,1]
	v_cvt_pk_fp8_f32 v21, v83, v84 op_sel:[0,0,1]
	;; [unrolled: 1-line block ×8, first 2 shown]
	s_clause 0x1
	scratch_store_b128 off, v[20:23], s33 offset:736
	scratch_store_b128 off, v[24:27], s33 offset:752
	s_wait_loadcnt 0x0
	;;#ASMSTART
	v_cvt_off_f32_i4 v28, v0
	;;#ASMEND
	v_ashrrev_i32_e32 v20, 16, v0
	v_ashrrev_i32_e32 v21, 8, v0
	;; [unrolled: 1-line block ×28, first 2 shown]
	;;#ASMSTART
	v_cvt_off_f32_i4 v70, v20
	;;#ASMEND
	;;#ASMSTART
	v_cvt_off_f32_i4 v71, v21
	;;#ASMEND
	;; [unrolled: 3-line block ×31, first 2 shown]
	scratch_load_b128 v[0:3], off, s33 offset:96
	v_dual_mov_b32 v20, 0 :: v_dual_mov_b32 v21, 0
	v_dual_mov_b32 v22, 0 :: v_dual_mov_b32 v23, 0
	;; [unrolled: 1-line block ×4, first 2 shown]
	s_delay_alu instid0(VALU_DEP_4)
	v_cvt_pk_fp8_f32 v20, v28, v70
	v_cvt_pk_fp8_f32 v21, v71, v80
	;; [unrolled: 1-line block ×8, first 2 shown]
	v_cvt_pk_fp8_f32 v20, v81, v82 op_sel:[0,0,1]
	v_cvt_pk_fp8_f32 v21, v83, v84 op_sel:[0,0,1]
	;; [unrolled: 1-line block ×8, first 2 shown]
	s_clause 0x1
	scratch_store_b128 off, v[20:23], s33 offset:672
	scratch_store_b128 off, v[24:27], s33 offset:688
	s_wait_loadcnt 0x0
	;;#ASMSTART
	v_cvt_off_f32_i4 v33, v0
	;;#ASMEND
	v_ashrrev_i32_e32 v20, 16, v0
	v_ashrrev_i32_e32 v21, 8, v0
	;; [unrolled: 1-line block ×28, first 2 shown]
	;;#ASMSTART
	v_cvt_off_f32_i4 v70, v20
	;;#ASMEND
	;;#ASMSTART
	v_cvt_off_f32_i4 v71, v21
	;;#ASMEND
	;; [unrolled: 3-line block ×31, first 2 shown]
	scratch_load_b128 v[0:3], off, s33 offset:32
	v_dual_mov_b32 v20, 0 :: v_dual_mov_b32 v21, 0
	v_dual_mov_b32 v22, 0 :: v_dual_mov_b32 v23, 0
	;; [unrolled: 1-line block ×4, first 2 shown]
	s_delay_alu instid0(VALU_DEP_4)
	v_cvt_pk_fp8_f32 v20, v33, v70
	v_cvt_pk_fp8_f32 v21, v71, v80
	;; [unrolled: 1-line block ×8, first 2 shown]
	v_cvt_pk_fp8_f32 v20, v81, v82 op_sel:[0,0,1]
	v_cvt_pk_fp8_f32 v21, v83, v84 op_sel:[0,0,1]
	;; [unrolled: 1-line block ×8, first 2 shown]
	v_dual_mov_b32 v28, 0 :: v_dual_mov_b32 v29, 0
	v_dual_mov_b32 v30, 0 :: v_dual_mov_b32 v31, 0
	;; [unrolled: 1-line block ×4, first 2 shown]
	s_clause 0x1
	scratch_store_b128 off, v[20:23], s33 offset:608
	scratch_store_b128 off, v[24:27], s33 offset:624
	s_wait_loadcnt 0x0
	;;#ASMSTART
	v_cvt_off_f32_i4 v20, v0
	;;#ASMEND
	v_ashrrev_i32_e32 v21, 16, v0
	v_ashrrev_i32_e32 v22, 8, v0
	;; [unrolled: 1-line block ×28, first 2 shown]
	;;#ASMSTART
	v_cvt_off_f32_i4 v21, v21
	;;#ASMEND
	;;#ASMSTART
	v_cvt_off_f32_i4 v22, v22
	;;#ASMEND
	;; [unrolled: 3-line block ×27, first 2 shown]
	v_cvt_pk_fp8_f32 v28, v20, v21
	v_cvt_pk_fp8_f32 v29, v22, v23
	;; [unrolled: 1-line block ×8, first 2 shown]
	;;#ASMSTART
	v_cvt_off_f32_i4 v82, v82
	;;#ASMEND
	;;#ASMSTART
	v_cvt_off_f32_i4 v83, v83
	;;#ASMEND
	;; [unrolled: 3-line block ×4, first 2 shown]
	v_cvt_pk_fp8_f32 v28, v24, v25 op_sel:[0,0,1]
	v_cvt_pk_fp8_f32 v29, v26, v0 op_sel:[0,0,1]
	;; [unrolled: 1-line block ×8, first 2 shown]
	v_mov_b32_e32 v3, 0
	s_clause 0x1
	scratch_store_b128 off, v[28:31], s33 offset:544
	scratch_store_b128 off, v[32:35], s33 offset:560
	; sched_barrier mask(0x00000000)
	scratch_load_b128 v[36:39], off, s33 offset:512
	s_clause 0x1
	flat_load_b128 v[24:27], v[52:53] offset:144
	flat_load_b128 v[20:23], v[52:53] offset:128
	scratch_load_b128 v[48:51], off, s33 offset:576
	s_clause 0x1
	flat_load_b128 v[32:35], v[52:53] offset:176
	flat_load_b128 v[28:31], v[52:53] offset:160
	s_clause 0x2
	scratch_load_b128 v[66:69], off, s33 offset:528
	scratch_load_b128 v[112:115], off, s33 offset:592
	;; [unrolled: 1-line block ×3, first 2 shown]
	s_clause 0x1
	flat_load_b128 v[84:87], v[52:53] offset:208
	flat_load_b128 v[80:83], v[52:53] offset:192
	scratch_load_b128 v[128:131], off, s33 offset:704
	s_clause 0x1
	flat_load_b128 v[100:103], v[52:53] offset:240
	flat_load_b128 v[96:99], v[52:53] offset:224
	s_clause 0x2
	scratch_load_b128 v[132:135], off, s33 offset:656
	scratch_load_b128 v[144:147], off, s33 offset:720
	;; [unrolled: 1-line block ×3, first 2 shown]
	s_wait_loadcnt_dscnt 0xe06
	v_wmma_f32_16x16x16_fp8_fp8 v[20:27], v[16:17], v[36:37], v[20:27]
	s_wait_loadcnt_dscnt 0xb04
	v_wmma_f32_16x16x16_fp8_fp8 v[28:35], v[16:17], v[48:49], v[28:35]
	s_delay_alu instid0(VALU_DEP_2)
	v_wmma_f32_16x16x16_fp8_fp8 v[20:27], v[18:19], v[38:39], v[20:27]
	scratch_load_b128 v[36:39], off, s33 offset:608
	v_wmma_f32_16x16x16_fp8_fp8 v[28:35], v[18:19], v[50:51], v[28:35]
	scratch_load_b128 v[48:51], off, s33 offset:560
	s_wait_loadcnt 0xc
	v_wmma_f32_16x16x16_fp8_fp8 v[20:27], v[12:13], v[66:67], v[20:27]
	s_wait_loadcnt 0xb
	v_wmma_f32_16x16x16_fp8_fp8 v[28:35], v[12:13], v[112:113], v[28:35]
	s_delay_alu instid0(VALU_DEP_2)
	v_wmma_f32_16x16x16_fp8_fp8 v[20:27], v[14:15], v[68:69], v[20:27]
	scratch_load_b128 v[66:69], off, s33 offset:624
	v_wmma_f32_16x16x16_fp8_fp8 v[28:35], v[14:15], v[114:115], v[28:35]
	s_wait_loadcnt_dscnt 0x902
	v_wmma_f32_16x16x16_fp8_fp8 v[80:87], v[16:17], v[116:117], v[80:87]
	scratch_load_b128 v[112:115], off, s33 offset:672
	s_wait_loadcnt_dscnt 0x700
	v_wmma_f32_16x16x16_fp8_fp8 v[96:103], v[16:17], v[128:129], v[96:103]
	; sched_group_barrier mask(0x00000008) size(8) SyncID(0)
	; sched_group_barrier mask(0x00000100) size(1) SyncID(0)
	v_wmma_f32_16x16x16_fp8_fp8 v[80:87], v[18:19], v[118:119], v[80:87]
	scratch_load_b128 v[116:119], off, s33 offset:736
	v_wmma_f32_16x16x16_fp8_fp8 v[96:103], v[18:19], v[130:131], v[96:103]
	s_clause 0x1
	scratch_load_b128 v[16:19], off, s33 offset:688
	scratch_load_b128 v[128:131], off, s33 offset:752
	s_wait_loadcnt 0x9
	v_wmma_f32_16x16x16_fp8_fp8 v[80:87], v[12:13], v[132:133], v[80:87]
	s_wait_loadcnt 0x8
	v_wmma_f32_16x16x16_fp8_fp8 v[96:103], v[12:13], v[144:145], v[96:103]
	s_delay_alu instid0(VALU_DEP_2) | instskip(NEXT) | instid1(VALU_DEP_2)
	v_wmma_f32_16x16x16_fp8_fp8 v[80:87], v[14:15], v[134:135], v[80:87]
	v_wmma_f32_16x16x16_fp8_fp8 v[96:103], v[14:15], v[146:147], v[96:103]
	s_wait_loadcnt 0x7
	v_wmma_f32_16x16x16_fp8_fp8 v[20:27], v[8:9], v[148:149], v[20:27]
	; sched_group_barrier mask(0x00000008) size(8) SyncID(0)
	; sched_group_barrier mask(0x00000100) size(1) SyncID(0)
	s_delay_alu instid0(VALU_DEP_1) | instskip(SKIP_3) | instid1(VALU_DEP_2)
	v_wmma_f32_16x16x16_fp8_fp8 v[20:27], v[10:11], v[150:151], v[20:27]
	s_wait_loadcnt 0x6
	v_wmma_f32_16x16x16_fp8_fp8 v[28:35], v[8:9], v[36:37], v[28:35]
	s_wait_loadcnt 0x5
	v_wmma_f32_16x16x16_fp8_fp8 v[20:27], v[4:5], v[48:49], v[20:27]
	s_delay_alu instid0(VALU_DEP_2)
	v_wmma_f32_16x16x16_fp8_fp8 v[28:35], v[10:11], v[38:39], v[28:35]
	scratch_load_b128 v[36:39], off, s33
	v_wmma_f32_16x16x16_fp8_fp8 v[20:27], v[6:7], v[50:51], v[20:27]
	s_wait_loadcnt 0x5
	v_wmma_f32_16x16x16_fp8_fp8 v[28:35], v[4:5], v[66:67], v[28:35]
	s_clause 0x1
	flat_store_b128 v[52:53], v[20:23] offset:128
	flat_store_b128 v[52:53], v[24:27] offset:144
	v_wmma_f32_16x16x16_fp8_fp8 v[28:35], v[6:7], v[68:69], v[28:35]
	s_wait_loadcnt 0x4
	v_wmma_f32_16x16x16_fp8_fp8 v[80:87], v[8:9], v[112:113], v[80:87]
	; sched_group_barrier mask(0x00000008) size(8) SyncID(0)
	; sched_group_barrier mask(0x00000100) size(1) SyncID(0)
	s_wait_loadcnt 0x3
	v_wmma_f32_16x16x16_fp8_fp8 v[96:103], v[8:9], v[116:117], v[96:103]
	flat_store_b128 v[52:53], v[28:31] offset:160
	v_wmma_f32_16x16x16_fp8_fp8 v[80:87], v[10:11], v[114:115], v[80:87]
	flat_store_b128 v[52:53], v[32:35] offset:176
	v_wmma_f32_16x16x16_fp8_fp8 v[96:103], v[10:11], v[118:119], v[96:103]
	s_wait_loadcnt 0x2
	v_wmma_f32_16x16x16_fp8_fp8 v[80:87], v[4:5], v[16:17], v[80:87]
	s_wait_loadcnt 0x1
	s_delay_alu instid0(VALU_DEP_2) | instskip(NEXT) | instid1(VALU_DEP_2)
	v_wmma_f32_16x16x16_fp8_fp8 v[96:103], v[4:5], v[128:129], v[96:103]
	v_wmma_f32_16x16x16_fp8_fp8 v[80:87], v[6:7], v[18:19], v[80:87]
	s_delay_alu instid0(VALU_DEP_2)
	v_wmma_f32_16x16x16_fp8_fp8 v[96:103], v[6:7], v[130:131], v[96:103]
	; sched_group_barrier mask(0x00000008) size(8) SyncID(0)
	; sched_group_barrier mask(0x00000100) size(1) SyncID(0)
	s_clause 0x3
	flat_store_b128 v[52:53], v[84:87] offset:208
	flat_store_b128 v[52:53], v[80:83] offset:192
	;; [unrolled: 1-line block ×4, first 2 shown]
	s_clause 0x3
	flat_load_b64 v[8:9], v[64:65] offset:1148
	flat_load_b64 v[10:11], v[64:65] offset:1164
	flat_load_b128 v[4:7], v[64:65] offset:1176
	flat_load_b96 v[0:2], v[64:65] offset:1132
	flat_load_b64 v[12:13], v[54:55]
	s_wait_loadcnt 0x5
	v_ashrrev_i32_e32 v22, 16, v36
	v_ashrrev_i32_e32 v23, 8, v36
	v_ashrrev_i32_e32 v32, 4, v37
	v_ashrrev_i32_e32 v33, 20, v37
	v_ashrrev_i32_e32 v34, 12, v37
	v_ashrrev_i32_e32 v35, 28, v37
	v_ashrrev_i32_e32 v48, 16, v38
	v_ashrrev_i32_e32 v49, 8, v38
	v_ashrrev_i32_e32 v50, 24, v38
	v_ashrrev_i32_e32 v51, 4, v38
	v_ashrrev_i32_e32 v66, 20, v38
	v_ashrrev_i32_e32 v67, 12, v38
	v_ashrrev_i32_e32 v68, 28, v38
	v_ashrrev_i32_e32 v69, 16, v39
	v_ashrrev_i32_e32 v70, 8, v39
	v_ashrrev_i32_e32 v71, 24, v39
	v_ashrrev_i32_e32 v80, 4, v39
	v_ashrrev_i32_e32 v81, 20, v39
	v_ashrrev_i32_e32 v82, 28, v39
	v_ashrrev_i32_e32 v24, 24, v36
	v_ashrrev_i32_e32 v25, 4, v36
	v_ashrrev_i32_e32 v26, 20, v36
	v_ashrrev_i32_e32 v27, 12, v36
	v_ashrrev_i32_e32 v28, 28, v36
	v_ashrrev_i32_e32 v29, 16, v37
	v_ashrrev_i32_e32 v30, 8, v37
	v_ashrrev_i32_e32 v31, 24, v37
	s_wait_loadcnt_dscnt 0x303
	v_sub_nc_u32_e32 v8, v8, v11
	s_wait_loadcnt_dscnt 0x202
	v_add_nc_u32_e32 v14, 16, v7
	v_add_nc_u32_e32 v4, v10, v4
	v_sub_nc_u32_e32 v11, v9, v10
	s_wait_loadcnt_dscnt 0x101
	v_sub_nc_u32_e32 v6, v0, v6
	v_add3_u32 v5, v8, v5, 64
	v_add_nc_u32_e32 v8, 64, v7
	v_add_nc_u32_e32 v7, 0x50, v7
	v_ashrrev_i32_e32 v10, 31, v14
	v_sub_nc_u32_e32 v4, v9, v4
	v_ashrrev_i32_e32 v9, 31, v5
	v_ashrrev_i32_e32 v15, 31, v8
	;; [unrolled: 1-line block ×3, first 2 shown]
	v_lshrrev_b32_e32 v10, 28, v10
	v_sub_nc_u32_e32 v2, v5, v2
	v_lshrrev_b32_e32 v9, 29, v9
	v_lshrrev_b32_e32 v15, 28, v15
	;; [unrolled: 1-line block ×3, first 2 shown]
	v_add_nc_u32_e32 v10, v14, v10
	v_lshlrev_b32_e32 v2, 7, v2
	v_add_nc_u32_e32 v9, v5, v9
	v_add_nc_u32_e32 v15, v8, v15
	;; [unrolled: 1-line block ×3, first 2 shown]
	v_lshrrev_b32_e32 v17, 4, v10
	v_and_b32_e32 v10, -16, v10
	v_and_b32_e32 v9, -8, v9
	v_lshrrev_b32_e32 v18, 4, v15
	v_lshrrev_b32_e32 v19, 4, v16
	v_and_b32_e32 v15, -16, v15
	v_sub_nc_u32_e32 v10, v14, v10
	v_sub_nc_u32_e32 v5, v5, v9
	v_and_b32_e32 v9, -16, v16
	v_add_nc_u32_e32 v16, v17, v4
	v_add_nc_u32_e32 v17, v18, v4
	;; [unrolled: 1-line block ×3, first 2 shown]
	v_xor_b32_e32 v11, v5, v11
	v_add_nc_u32_e32 v6, v6, v2
	v_xor_b32_e32 v14, v16, v5
	v_xor_b32_e32 v16, v17, v5
	;; [unrolled: 1-line block ×3, first 2 shown]
	v_sub_nc_u32_e32 v5, v11, v1
	v_sub_nc_u32_e32 v8, v8, v15
	;; [unrolled: 1-line block ×5, first 2 shown]
	v_lshlrev_b32_e32 v4, 4, v5
	v_sub_nc_u32_e32 v5, v7, v9
	v_lshlrev_b32_e32 v7, 4, v11
	v_lshlrev_b32_e32 v9, 4, v14
	;; [unrolled: 1-line block ×3, first 2 shown]
	v_add3_u32 v0, v2, v0, v4
	v_ashrrev_i32_e32 v2, 12, v39
	v_add3_u32 v4, v10, v6, v7
	v_add3_u32 v7, v8, v6, v9
	;; [unrolled: 1-line block ×3, first 2 shown]
	v_ashrrev_i32_e32 v5, 31, v0
	s_wait_loadcnt_dscnt 0x0
	v_add_co_u32 v0, vcc_lo, v12, v0
	v_ashrrev_i32_e32 v8, 31, v4
	v_ashrrev_i32_e32 v9, 31, v7
	;; [unrolled: 1-line block ×3, first 2 shown]
	v_add_co_u32 v4, s0, v12, v4
	v_add_co_u32 v6, s1, v12, v7
	v_add_co_u32 v20, s2, v12, v1
	s_wait_alu 0xfffd
	v_add_co_ci_u32_e64 v1, null, v13, v5, vcc_lo
	s_wait_alu 0xf1ff
	v_add_co_ci_u32_e64 v5, null, v13, v8, s0
	v_add_co_ci_u32_e64 v7, null, v13, v9, s1
	;; [unrolled: 1-line block ×3, first 2 shown]
	s_clause 0x3
	flat_load_b128 v[16:19], v[0:1]
	flat_load_b128 v[12:15], v[4:5]
	;; [unrolled: 1-line block ×4, first 2 shown]
	;;#ASMSTART
	v_cvt_off_f32_i4 v0, v36
	;;#ASMEND
	;;#ASMSTART
	v_cvt_off_f32_i4 v1, v22
	;;#ASMEND
	;; [unrolled: 3-line block ×32, first 2 shown]
	scratch_load_b128 v[20:23], off, s33 offset:64
	v_dual_mov_b32 v24, 0 :: v_dual_mov_b32 v25, 0
	v_dual_mov_b32 v26, 0 :: v_dual_mov_b32 v27, 0
	;; [unrolled: 1-line block ×4, first 2 shown]
	s_delay_alu instid0(VALU_DEP_4)
	v_cvt_pk_fp8_f32 v24, v0, v1
	v_cvt_pk_fp8_f32 v25, v36, v83
	;; [unrolled: 1-line block ×8, first 2 shown]
	v_cvt_pk_fp8_f32 v24, v84, v85 op_sel:[0,0,1]
	v_cvt_pk_fp8_f32 v25, v86, v87 op_sel:[0,0,1]
	;; [unrolled: 1-line block ×8, first 2 shown]
	s_clause 0x1
	scratch_store_b128 off, v[24:27], s33 offset:512
	scratch_store_b128 off, v[28:31], s33 offset:528
	s_wait_loadcnt 0x0
	;;#ASMSTART
	v_cvt_off_f32_i4 v0, v20
	;;#ASMEND
	v_ashrrev_i32_e32 v1, 16, v20
	v_ashrrev_i32_e32 v2, 8, v20
	;; [unrolled: 1-line block ×28, first 2 shown]
	;;#ASMSTART
	v_cvt_off_f32_i4 v1, v1
	;;#ASMEND
	;;#ASMSTART
	v_cvt_off_f32_i4 v2, v2
	;;#ASMEND
	;; [unrolled: 3-line block ×31, first 2 shown]
	scratch_load_b128 v[20:23], off, s33 offset:128
	v_dual_mov_b32 v24, 0 :: v_dual_mov_b32 v25, 0
	v_dual_mov_b32 v26, 0 :: v_dual_mov_b32 v27, 0
	;; [unrolled: 1-line block ×4, first 2 shown]
	s_delay_alu instid0(VALU_DEP_4)
	v_cvt_pk_fp8_f32 v24, v0, v1
	v_cvt_pk_fp8_f32 v25, v2, v71
	;; [unrolled: 1-line block ×8, first 2 shown]
	v_cvt_pk_fp8_f32 v24, v80, v81 op_sel:[0,0,1]
	v_cvt_pk_fp8_f32 v25, v82, v83 op_sel:[0,0,1]
	;; [unrolled: 1-line block ×8, first 2 shown]
	s_clause 0x1
	scratch_store_b128 off, v[24:27], s33 offset:576
	scratch_store_b128 off, v[28:31], s33 offset:592
	s_wait_loadcnt 0x0
	;;#ASMSTART
	v_cvt_off_f32_i4 v0, v20
	;;#ASMEND
	v_ashrrev_i32_e32 v1, 16, v20
	v_ashrrev_i32_e32 v2, 8, v20
	;; [unrolled: 1-line block ×28, first 2 shown]
	;;#ASMSTART
	v_cvt_off_f32_i4 v1, v1
	;;#ASMEND
	;;#ASMSTART
	v_cvt_off_f32_i4 v2, v2
	;;#ASMEND
	;; [unrolled: 3-line block ×31, first 2 shown]
	scratch_load_b128 v[20:23], off, s33 offset:192
	v_dual_mov_b32 v24, 0 :: v_dual_mov_b32 v25, 0
	v_dual_mov_b32 v26, 0 :: v_dual_mov_b32 v27, 0
	;; [unrolled: 1-line block ×4, first 2 shown]
	s_delay_alu instid0(VALU_DEP_4)
	v_cvt_pk_fp8_f32 v24, v0, v1
	v_cvt_pk_fp8_f32 v25, v2, v71
	;; [unrolled: 1-line block ×8, first 2 shown]
	v_cvt_pk_fp8_f32 v24, v80, v81 op_sel:[0,0,1]
	v_cvt_pk_fp8_f32 v25, v82, v83 op_sel:[0,0,1]
	v_cvt_pk_fp8_f32 v26, v96, v32 op_sel:[0,0,1]
	v_cvt_pk_fp8_f32 v27, v33, v34 op_sel:[0,0,1]
	v_cvt_pk_fp8_f32 v28, v38, v39 op_sel:[0,0,1]
	v_cvt_pk_fp8_f32 v29, v48, v49 op_sel:[0,0,1]
	v_cvt_pk_fp8_f32 v30, v67, v68 op_sel:[0,0,1]
	v_cvt_pk_fp8_f32 v31, v69, v70 op_sel:[0,0,1]
	s_clause 0x1
	scratch_store_b128 off, v[24:27], s33 offset:640
	scratch_store_b128 off, v[28:31], s33 offset:656
	s_wait_loadcnt 0x0
	;;#ASMSTART
	v_cvt_off_f32_i4 v0, v20
	;;#ASMEND
	v_ashrrev_i32_e32 v1, 16, v20
	v_ashrrev_i32_e32 v2, 8, v20
	;; [unrolled: 1-line block ×28, first 2 shown]
	;;#ASMSTART
	v_cvt_off_f32_i4 v1, v1
	;;#ASMEND
	;;#ASMSTART
	v_cvt_off_f32_i4 v2, v2
	;;#ASMEND
	;; [unrolled: 3-line block ×31, first 2 shown]
	scratch_load_b128 v[20:23], off, s33 offset:224
	v_dual_mov_b32 v24, 0 :: v_dual_mov_b32 v25, 0
	v_dual_mov_b32 v26, 0 :: v_dual_mov_b32 v27, 0
	;; [unrolled: 1-line block ×4, first 2 shown]
	s_delay_alu instid0(VALU_DEP_4)
	v_cvt_pk_fp8_f32 v24, v0, v1
	v_cvt_pk_fp8_f32 v25, v2, v71
	;; [unrolled: 1-line block ×8, first 2 shown]
	v_cvt_pk_fp8_f32 v24, v80, v81 op_sel:[0,0,1]
	v_cvt_pk_fp8_f32 v25, v82, v83 op_sel:[0,0,1]
	;; [unrolled: 1-line block ×8, first 2 shown]
	s_clause 0x1
	scratch_store_b128 off, v[24:27], s33 offset:704
	scratch_store_b128 off, v[28:31], s33 offset:720
	s_wait_loadcnt 0x0
	;;#ASMSTART
	v_cvt_off_f32_i4 v0, v20
	;;#ASMEND
	v_ashrrev_i32_e32 v1, 16, v20
	v_ashrrev_i32_e32 v2, 8, v20
	;; [unrolled: 1-line block ×28, first 2 shown]
	;;#ASMSTART
	v_cvt_off_f32_i4 v1, v1
	;;#ASMEND
	;;#ASMSTART
	v_cvt_off_f32_i4 v2, v2
	;;#ASMEND
	;; [unrolled: 3-line block ×31, first 2 shown]
	scratch_load_b128 v[20:23], off, s33 offset:160
	v_dual_mov_b32 v24, 0 :: v_dual_mov_b32 v25, 0
	v_dual_mov_b32 v26, 0 :: v_dual_mov_b32 v27, 0
	v_dual_mov_b32 v28, 0 :: v_dual_mov_b32 v29, 0
	v_dual_mov_b32 v30, 0 :: v_dual_mov_b32 v31, 0
	s_delay_alu instid0(VALU_DEP_4)
	v_cvt_pk_fp8_f32 v24, v0, v1
	v_cvt_pk_fp8_f32 v25, v2, v71
	;; [unrolled: 1-line block ×8, first 2 shown]
	v_cvt_pk_fp8_f32 v24, v80, v81 op_sel:[0,0,1]
	v_cvt_pk_fp8_f32 v25, v82, v83 op_sel:[0,0,1]
	;; [unrolled: 1-line block ×8, first 2 shown]
	s_clause 0x1
	scratch_store_b128 off, v[24:27], s33 offset:736
	scratch_store_b128 off, v[28:31], s33 offset:752
	s_wait_loadcnt 0x0
	;;#ASMSTART
	v_cvt_off_f32_i4 v0, v20
	;;#ASMEND
	v_ashrrev_i32_e32 v1, 16, v20
	v_ashrrev_i32_e32 v2, 8, v20
	;; [unrolled: 1-line block ×28, first 2 shown]
	;;#ASMSTART
	v_cvt_off_f32_i4 v1, v1
	;;#ASMEND
	;;#ASMSTART
	v_cvt_off_f32_i4 v2, v2
	;;#ASMEND
	;; [unrolled: 3-line block ×31, first 2 shown]
	scratch_load_b128 v[20:23], off, s33 offset:96
	v_dual_mov_b32 v24, 0 :: v_dual_mov_b32 v25, 0
	v_dual_mov_b32 v26, 0 :: v_dual_mov_b32 v27, 0
	;; [unrolled: 1-line block ×4, first 2 shown]
	s_delay_alu instid0(VALU_DEP_4)
	v_cvt_pk_fp8_f32 v24, v0, v1
	v_cvt_pk_fp8_f32 v25, v2, v71
	v_cvt_pk_fp8_f32 v26, v84, v85
	v_cvt_pk_fp8_f32 v27, v86, v87
	v_cvt_pk_fp8_f32 v28, v97, v35
	v_cvt_pk_fp8_f32 v29, v36, v37
	v_cvt_pk_fp8_f32 v30, v98, v50
	v_cvt_pk_fp8_f32 v31, v51, v66
	v_cvt_pk_fp8_f32 v24, v80, v81 op_sel:[0,0,1]
	v_cvt_pk_fp8_f32 v25, v82, v83 op_sel:[0,0,1]
	;; [unrolled: 1-line block ×8, first 2 shown]
	s_clause 0x1
	scratch_store_b128 off, v[24:27], s33 offset:672
	scratch_store_b128 off, v[28:31], s33 offset:688
	s_wait_loadcnt 0x0
	;;#ASMSTART
	v_cvt_off_f32_i4 v0, v20
	;;#ASMEND
	v_ashrrev_i32_e32 v1, 16, v20
	v_ashrrev_i32_e32 v2, 8, v20
	;; [unrolled: 1-line block ×28, first 2 shown]
	;;#ASMSTART
	v_cvt_off_f32_i4 v1, v1
	;;#ASMEND
	;;#ASMSTART
	v_cvt_off_f32_i4 v2, v2
	;;#ASMEND
	;;#ASMSTART
	v_cvt_off_f32_i4 v71, v24
	;;#ASMEND
	;;#ASMSTART
	v_cvt_off_f32_i4 v80, v25
	;;#ASMEND
	;;#ASMSTART
	v_cvt_off_f32_i4 v81, v26
	;;#ASMEND
	;;#ASMSTART
	v_cvt_off_f32_i4 v82, v27
	;;#ASMEND
	;;#ASMSTART
	v_cvt_off_f32_i4 v83, v20
	;;#ASMEND
	;;#ASMSTART
	v_cvt_off_f32_i4 v84, v21
	;;#ASMEND
	;;#ASMSTART
	v_cvt_off_f32_i4 v85, v28
	;;#ASMEND
	;;#ASMSTART
	v_cvt_off_f32_i4 v86, v29
	;;#ASMEND
	;;#ASMSTART
	v_cvt_off_f32_i4 v87, v30
	;;#ASMEND
	;;#ASMSTART
	v_cvt_off_f32_i4 v96, v31
	;;#ASMEND
	;;#ASMSTART
	v_cvt_off_f32_i4 v97, v32
	;;#ASMEND
	;;#ASMSTART
	v_cvt_off_f32_i4 v98, v33
	;;#ASMEND
	;;#ASMSTART
	v_cvt_off_f32_i4 v99, v34
	;;#ASMEND
	;;#ASMSTART
	v_cvt_off_f32_i4 v100, v22
	;;#ASMEND
	;;#ASMSTART
	v_cvt_off_f32_i4 v101, v35
	;;#ASMEND
	;;#ASMSTART
	v_cvt_off_f32_i4 v102, v36
	;;#ASMEND
	;;#ASMSTART
	v_cvt_off_f32_i4 v37, v37
	;;#ASMEND
	;;#ASMSTART
	v_cvt_off_f32_i4 v38, v38
	;;#ASMEND
	;;#ASMSTART
	v_cvt_off_f32_i4 v39, v39
	;;#ASMEND
	;;#ASMSTART
	v_cvt_off_f32_i4 v48, v48
	;;#ASMEND
	;;#ASMSTART
	v_cvt_off_f32_i4 v49, v49
	;;#ASMEND
	;;#ASMSTART
	v_cvt_off_f32_i4 v103, v23
	;;#ASMEND
	;;#ASMSTART
	v_cvt_off_f32_i4 v50, v50
	;;#ASMEND
	;;#ASMSTART
	v_cvt_off_f32_i4 v51, v51
	;;#ASMEND
	;;#ASMSTART
	v_cvt_off_f32_i4 v66, v66
	;;#ASMEND
	;;#ASMSTART
	v_cvt_off_f32_i4 v67, v67
	;;#ASMEND
	;;#ASMSTART
	v_cvt_off_f32_i4 v68, v68
	;;#ASMEND
	;;#ASMSTART
	v_cvt_off_f32_i4 v69, v69
	;;#ASMEND
	;;#ASMSTART
	v_cvt_off_f32_i4 v70, v70
	;;#ASMEND
	scratch_load_b128 v[20:23], off, s33 offset:32
	v_dual_mov_b32 v24, 0 :: v_dual_mov_b32 v25, 0
	v_dual_mov_b32 v26, 0 :: v_dual_mov_b32 v27, 0
	;; [unrolled: 1-line block ×4, first 2 shown]
	s_delay_alu instid0(VALU_DEP_4)
	v_cvt_pk_fp8_f32 v24, v0, v1
	v_cvt_pk_fp8_f32 v25, v2, v71
	;; [unrolled: 1-line block ×8, first 2 shown]
	v_cvt_pk_fp8_f32 v24, v80, v81 op_sel:[0,0,1]
	v_cvt_pk_fp8_f32 v25, v82, v83 op_sel:[0,0,1]
	;; [unrolled: 1-line block ×8, first 2 shown]
	v_dual_mov_b32 v32, 0 :: v_dual_mov_b32 v33, 0
	v_dual_mov_b32 v34, 0 :: v_dual_mov_b32 v35, 0
	;; [unrolled: 1-line block ×4, first 2 shown]
	s_clause 0x1
	scratch_store_b128 off, v[24:27], s33 offset:608
	scratch_store_b128 off, v[28:31], s33 offset:624
	s_wait_loadcnt 0x0
	;;#ASMSTART
	v_cvt_off_f32_i4 v0, v20
	;;#ASMEND
	v_ashrrev_i32_e32 v1, 16, v20
	v_ashrrev_i32_e32 v2, 8, v20
	;; [unrolled: 1-line block ×28, first 2 shown]
	;;#ASMSTART
	v_cvt_off_f32_i4 v1, v1
	;;#ASMEND
	;;#ASMSTART
	v_cvt_off_f32_i4 v2, v2
	;;#ASMEND
	;; [unrolled: 3-line block ×27, first 2 shown]
	v_cvt_pk_fp8_f32 v32, v0, v1
	v_cvt_pk_fp8_f32 v33, v2, v24
	;; [unrolled: 1-line block ×8, first 2 shown]
	;;#ASMSTART
	v_cvt_off_f32_i4 v83, v83
	;;#ASMEND
	;;#ASMSTART
	v_cvt_off_f32_i4 v84, v84
	;;#ASMEND
	;; [unrolled: 3-line block ×4, first 2 shown]
	v_cvt_pk_fp8_f32 v32, v25, v26 op_sel:[0,0,1]
	v_cvt_pk_fp8_f32 v33, v27, v20 op_sel:[0,0,1]
	;; [unrolled: 1-line block ×8, first 2 shown]
	s_clause 0x1
	scratch_store_b128 off, v[32:35], s33 offset:544
	scratch_store_b128 off, v[36:39], s33 offset:560
	; sched_barrier mask(0x00000000)
	scratch_load_b128 v[36:39], off, s33 offset:512
	s_clause 0x1
	flat_load_b128 v[24:27], v[52:53] offset:272
	flat_load_b128 v[20:23], v[52:53] offset:256
	scratch_load_b128 v[48:51], off, s33 offset:576
	s_clause 0x1
	flat_load_b128 v[32:35], v[52:53] offset:304
	flat_load_b128 v[28:31], v[52:53] offset:288
	s_clause 0x2
	scratch_load_b128 v[66:69], off, s33 offset:528
	scratch_load_b128 v[112:115], off, s33 offset:592
	;; [unrolled: 1-line block ×3, first 2 shown]
	s_clause 0x1
	flat_load_b128 v[84:87], v[52:53] offset:336
	flat_load_b128 v[80:83], v[52:53] offset:320
	scratch_load_b128 v[128:131], off, s33 offset:704
	s_clause 0x1
	flat_load_b128 v[100:103], v[52:53] offset:368
	flat_load_b128 v[96:99], v[52:53] offset:352
	s_clause 0x2
	scratch_load_b128 v[132:135], off, s33 offset:656
	scratch_load_b128 v[144:147], off, s33 offset:720
	;; [unrolled: 1-line block ×3, first 2 shown]
	s_wait_loadcnt_dscnt 0xe06
	v_wmma_f32_16x16x16_fp8_fp8 v[20:27], v[16:17], v[36:37], v[20:27]
	s_wait_loadcnt_dscnt 0xb04
	v_wmma_f32_16x16x16_fp8_fp8 v[28:35], v[16:17], v[48:49], v[28:35]
	s_delay_alu instid0(VALU_DEP_2)
	v_wmma_f32_16x16x16_fp8_fp8 v[20:27], v[18:19], v[38:39], v[20:27]
	scratch_load_b128 v[36:39], off, s33 offset:608
	v_wmma_f32_16x16x16_fp8_fp8 v[28:35], v[18:19], v[50:51], v[28:35]
	scratch_load_b128 v[48:51], off, s33 offset:560
	s_wait_loadcnt 0xc
	v_wmma_f32_16x16x16_fp8_fp8 v[20:27], v[12:13], v[66:67], v[20:27]
	s_wait_loadcnt 0xb
	v_wmma_f32_16x16x16_fp8_fp8 v[28:35], v[12:13], v[112:113], v[28:35]
	s_delay_alu instid0(VALU_DEP_2)
	v_wmma_f32_16x16x16_fp8_fp8 v[20:27], v[14:15], v[68:69], v[20:27]
	scratch_load_b128 v[66:69], off, s33 offset:624
	v_wmma_f32_16x16x16_fp8_fp8 v[28:35], v[14:15], v[114:115], v[28:35]
	s_wait_loadcnt_dscnt 0x902
	v_wmma_f32_16x16x16_fp8_fp8 v[80:87], v[16:17], v[116:117], v[80:87]
	scratch_load_b128 v[112:115], off, s33 offset:672
	s_wait_loadcnt_dscnt 0x700
	v_wmma_f32_16x16x16_fp8_fp8 v[96:103], v[16:17], v[128:129], v[96:103]
	; sched_group_barrier mask(0x00000008) size(8) SyncID(0)
	; sched_group_barrier mask(0x00000100) size(1) SyncID(0)
	v_wmma_f32_16x16x16_fp8_fp8 v[80:87], v[18:19], v[118:119], v[80:87]
	scratch_load_b128 v[116:119], off, s33 offset:736
	v_wmma_f32_16x16x16_fp8_fp8 v[96:103], v[18:19], v[130:131], v[96:103]
	s_clause 0x1
	scratch_load_b128 v[16:19], off, s33 offset:688
	scratch_load_b128 v[128:131], off, s33 offset:752
	s_wait_loadcnt 0x9
	v_wmma_f32_16x16x16_fp8_fp8 v[80:87], v[12:13], v[132:133], v[80:87]
	s_wait_loadcnt 0x8
	v_wmma_f32_16x16x16_fp8_fp8 v[96:103], v[12:13], v[144:145], v[96:103]
	s_delay_alu instid0(VALU_DEP_2) | instskip(NEXT) | instid1(VALU_DEP_2)
	v_wmma_f32_16x16x16_fp8_fp8 v[80:87], v[14:15], v[134:135], v[80:87]
	v_wmma_f32_16x16x16_fp8_fp8 v[96:103], v[14:15], v[146:147], v[96:103]
	s_wait_loadcnt 0x7
	v_wmma_f32_16x16x16_fp8_fp8 v[20:27], v[8:9], v[148:149], v[20:27]
	; sched_group_barrier mask(0x00000008) size(8) SyncID(0)
	; sched_group_barrier mask(0x00000100) size(1) SyncID(0)
	s_delay_alu instid0(VALU_DEP_1) | instskip(SKIP_3) | instid1(VALU_DEP_2)
	v_wmma_f32_16x16x16_fp8_fp8 v[20:27], v[10:11], v[150:151], v[20:27]
	s_wait_loadcnt 0x6
	v_wmma_f32_16x16x16_fp8_fp8 v[28:35], v[8:9], v[36:37], v[28:35]
	s_wait_loadcnt 0x5
	v_wmma_f32_16x16x16_fp8_fp8 v[20:27], v[4:5], v[48:49], v[20:27]
	s_delay_alu instid0(VALU_DEP_2)
	v_wmma_f32_16x16x16_fp8_fp8 v[28:35], v[10:11], v[38:39], v[28:35]
	scratch_load_b128 v[36:39], off, s33
	v_wmma_f32_16x16x16_fp8_fp8 v[20:27], v[6:7], v[50:51], v[20:27]
	s_wait_loadcnt 0x5
	v_wmma_f32_16x16x16_fp8_fp8 v[28:35], v[4:5], v[66:67], v[28:35]
	s_clause 0x1
	flat_store_b128 v[52:53], v[20:23] offset:256
	flat_store_b128 v[52:53], v[24:27] offset:272
	v_wmma_f32_16x16x16_fp8_fp8 v[28:35], v[6:7], v[68:69], v[28:35]
	s_wait_loadcnt 0x4
	v_wmma_f32_16x16x16_fp8_fp8 v[80:87], v[8:9], v[112:113], v[80:87]
	; sched_group_barrier mask(0x00000008) size(8) SyncID(0)
	; sched_group_barrier mask(0x00000100) size(1) SyncID(0)
	s_wait_loadcnt 0x3
	v_wmma_f32_16x16x16_fp8_fp8 v[96:103], v[8:9], v[116:117], v[96:103]
	flat_store_b128 v[52:53], v[28:31] offset:288
	v_wmma_f32_16x16x16_fp8_fp8 v[80:87], v[10:11], v[114:115], v[80:87]
	flat_store_b128 v[52:53], v[32:35] offset:304
	v_wmma_f32_16x16x16_fp8_fp8 v[96:103], v[10:11], v[118:119], v[96:103]
	s_wait_loadcnt 0x2
	v_wmma_f32_16x16x16_fp8_fp8 v[80:87], v[4:5], v[16:17], v[80:87]
	s_wait_loadcnt 0x1
	s_delay_alu instid0(VALU_DEP_2) | instskip(NEXT) | instid1(VALU_DEP_2)
	v_wmma_f32_16x16x16_fp8_fp8 v[96:103], v[4:5], v[128:129], v[96:103]
	v_wmma_f32_16x16x16_fp8_fp8 v[80:87], v[6:7], v[18:19], v[80:87]
	s_delay_alu instid0(VALU_DEP_2)
	v_wmma_f32_16x16x16_fp8_fp8 v[96:103], v[6:7], v[130:131], v[96:103]
	; sched_group_barrier mask(0x00000008) size(8) SyncID(0)
	; sched_group_barrier mask(0x00000100) size(1) SyncID(0)
	s_clause 0x3
	flat_store_b128 v[52:53], v[84:87] offset:336
	flat_store_b128 v[52:53], v[80:83] offset:320
	flat_store_b128 v[52:53], v[100:103] offset:368
	flat_store_b128 v[52:53], v[96:99] offset:352
	s_clause 0x3
	flat_load_b64 v[8:9], v[64:65] offset:1148
	flat_load_b64 v[10:11], v[64:65] offset:1164
	flat_load_b128 v[4:7], v[64:65] offset:1176
	flat_load_b96 v[0:2], v[64:65] offset:1132
	flat_load_b64 v[12:13], v[54:55]
	s_wait_loadcnt 0x5
	v_ashrrev_i32_e32 v22, 16, v36
	v_ashrrev_i32_e32 v23, 8, v36
	;; [unrolled: 1-line block ×27, first 2 shown]
	s_wait_loadcnt_dscnt 0x303
	v_sub_nc_u32_e32 v8, v8, v11
	s_wait_loadcnt_dscnt 0x202
	v_add_nc_u32_e32 v14, 16, v7
	v_add_nc_u32_e32 v4, v10, v4
	v_sub_nc_u32_e32 v11, v9, v10
	s_wait_loadcnt_dscnt 0x101
	v_sub_nc_u32_e32 v6, v0, v6
	v_add3_u32 v5, v8, v5, 0x60
	v_add_nc_u32_e32 v8, 64, v7
	v_add_nc_u32_e32 v7, 0x50, v7
	v_ashrrev_i32_e32 v10, 31, v14
	v_sub_nc_u32_e32 v4, v9, v4
	v_ashrrev_i32_e32 v9, 31, v5
	v_ashrrev_i32_e32 v15, 31, v8
	;; [unrolled: 1-line block ×3, first 2 shown]
	v_lshrrev_b32_e32 v10, 28, v10
	v_sub_nc_u32_e32 v2, v5, v2
	v_lshrrev_b32_e32 v9, 29, v9
	v_lshrrev_b32_e32 v15, 28, v15
	;; [unrolled: 1-line block ×3, first 2 shown]
	v_add_nc_u32_e32 v10, v14, v10
	v_lshlrev_b32_e32 v2, 7, v2
	v_add_nc_u32_e32 v9, v5, v9
	v_add_nc_u32_e32 v15, v8, v15
	;; [unrolled: 1-line block ×3, first 2 shown]
	v_lshrrev_b32_e32 v17, 4, v10
	v_and_b32_e32 v10, -16, v10
	v_and_b32_e32 v9, -8, v9
	v_lshrrev_b32_e32 v18, 4, v15
	v_lshrrev_b32_e32 v19, 4, v16
	v_and_b32_e32 v15, -16, v15
	v_sub_nc_u32_e32 v10, v14, v10
	v_sub_nc_u32_e32 v5, v5, v9
	v_and_b32_e32 v9, -16, v16
	v_add_nc_u32_e32 v16, v17, v4
	v_add_nc_u32_e32 v17, v18, v4
	;; [unrolled: 1-line block ×3, first 2 shown]
	v_xor_b32_e32 v11, v5, v11
	v_add_nc_u32_e32 v6, v6, v2
	v_xor_b32_e32 v14, v16, v5
	v_xor_b32_e32 v16, v17, v5
	;; [unrolled: 1-line block ×3, first 2 shown]
	v_sub_nc_u32_e32 v5, v11, v1
	v_sub_nc_u32_e32 v8, v8, v15
	;; [unrolled: 1-line block ×5, first 2 shown]
	v_lshlrev_b32_e32 v4, 4, v5
	v_sub_nc_u32_e32 v5, v7, v9
	v_lshlrev_b32_e32 v7, 4, v11
	v_lshlrev_b32_e32 v9, 4, v14
	;; [unrolled: 1-line block ×3, first 2 shown]
	v_add3_u32 v0, v2, v0, v4
	v_ashrrev_i32_e32 v2, 12, v39
	v_add3_u32 v4, v10, v6, v7
	v_add3_u32 v7, v8, v6, v9
	;; [unrolled: 1-line block ×3, first 2 shown]
	v_ashrrev_i32_e32 v5, 31, v0
	s_wait_loadcnt_dscnt 0x0
	v_add_co_u32 v0, vcc_lo, v12, v0
	v_ashrrev_i32_e32 v8, 31, v4
	v_ashrrev_i32_e32 v9, 31, v7
	;; [unrolled: 1-line block ×3, first 2 shown]
	v_add_co_u32 v4, s0, v12, v4
	v_add_co_u32 v6, s1, v12, v7
	;; [unrolled: 1-line block ×3, first 2 shown]
	s_wait_alu 0xfffd
	v_add_co_ci_u32_e64 v1, null, v13, v5, vcc_lo
	s_wait_alu 0xf1ff
	v_add_co_ci_u32_e64 v5, null, v13, v8, s0
	v_add_co_ci_u32_e64 v7, null, v13, v9, s1
	v_add_co_ci_u32_e64 v21, null, v13, v10, s2
	s_clause 0x3
	flat_load_b128 v[16:19], v[0:1]
	flat_load_b128 v[12:15], v[4:5]
	;; [unrolled: 1-line block ×4, first 2 shown]
	;;#ASMSTART
	v_cvt_off_f32_i4 v0, v36
	;;#ASMEND
	;;#ASMSTART
	v_cvt_off_f32_i4 v1, v22
	;;#ASMEND
	;;#ASMSTART
	v_cvt_off_f32_i4 v36, v23
	;;#ASMEND
	;;#ASMSTART
	v_cvt_off_f32_i4 v83, v24
	;;#ASMEND
	;;#ASMSTART
	v_cvt_off_f32_i4 v84, v25
	;;#ASMEND
	;;#ASMSTART
	v_cvt_off_f32_i4 v85, v26
	;;#ASMEND
	;;#ASMSTART
	v_cvt_off_f32_i4 v86, v27
	;;#ASMEND
	;;#ASMSTART
	v_cvt_off_f32_i4 v87, v28
	;;#ASMEND
	;;#ASMSTART
	v_cvt_off_f32_i4 v37, v37
	;;#ASMEND
	;;#ASMSTART
	v_cvt_off_f32_i4 v96, v29
	;;#ASMEND
	;;#ASMSTART
	v_cvt_off_f32_i4 v97, v30
	;;#ASMEND
	;;#ASMSTART
	v_cvt_off_f32_i4 v98, v31
	;;#ASMEND
	;;#ASMSTART
	v_cvt_off_f32_i4 v32, v32
	;;#ASMEND
	;;#ASMSTART
	v_cvt_off_f32_i4 v33, v33
	;;#ASMEND
	;;#ASMSTART
	v_cvt_off_f32_i4 v34, v34
	;;#ASMEND
	;;#ASMSTART
	v_cvt_off_f32_i4 v35, v35
	;;#ASMEND
	;;#ASMSTART
	v_cvt_off_f32_i4 v38, v38
	;;#ASMEND
	;;#ASMSTART
	v_cvt_off_f32_i4 v48, v48
	;;#ASMEND
	;;#ASMSTART
	v_cvt_off_f32_i4 v49, v49
	;;#ASMEND
	;;#ASMSTART
	v_cvt_off_f32_i4 v50, v50
	;;#ASMEND
	;;#ASMSTART
	v_cvt_off_f32_i4 v51, v51
	;;#ASMEND
	;;#ASMSTART
	v_cvt_off_f32_i4 v66, v66
	;;#ASMEND
	;;#ASMSTART
	v_cvt_off_f32_i4 v67, v67
	;;#ASMEND
	;;#ASMSTART
	v_cvt_off_f32_i4 v68, v68
	;;#ASMEND
	;;#ASMSTART
	v_cvt_off_f32_i4 v39, v39
	;;#ASMEND
	;;#ASMSTART
	v_cvt_off_f32_i4 v69, v69
	;;#ASMEND
	;;#ASMSTART
	v_cvt_off_f32_i4 v70, v70
	;;#ASMEND
	;;#ASMSTART
	v_cvt_off_f32_i4 v71, v71
	;;#ASMEND
	;;#ASMSTART
	v_cvt_off_f32_i4 v80, v80
	;;#ASMEND
	;;#ASMSTART
	v_cvt_off_f32_i4 v81, v81
	;;#ASMEND
	;;#ASMSTART
	v_cvt_off_f32_i4 v2, v2
	;;#ASMEND
	;;#ASMSTART
	v_cvt_off_f32_i4 v82, v82
	;;#ASMEND
	scratch_load_b128 v[20:23], off, s33 offset:64
	v_dual_mov_b32 v24, 0 :: v_dual_mov_b32 v25, 0
	v_dual_mov_b32 v26, 0 :: v_dual_mov_b32 v27, 0
	;; [unrolled: 1-line block ×4, first 2 shown]
	s_delay_alu instid0(VALU_DEP_4)
	v_cvt_pk_fp8_f32 v24, v0, v1
	v_cvt_pk_fp8_f32 v25, v36, v83
	;; [unrolled: 1-line block ×8, first 2 shown]
	v_cvt_pk_fp8_f32 v24, v84, v85 op_sel:[0,0,1]
	v_cvt_pk_fp8_f32 v25, v86, v87 op_sel:[0,0,1]
	;; [unrolled: 1-line block ×8, first 2 shown]
	s_clause 0x1
	scratch_store_b128 off, v[24:27], s33 offset:512
	scratch_store_b128 off, v[28:31], s33 offset:528
	s_wait_loadcnt 0x0
	;;#ASMSTART
	v_cvt_off_f32_i4 v0, v20
	;;#ASMEND
	v_ashrrev_i32_e32 v1, 16, v20
	v_ashrrev_i32_e32 v2, 8, v20
	;; [unrolled: 1-line block ×28, first 2 shown]
	;;#ASMSTART
	v_cvt_off_f32_i4 v1, v1
	;;#ASMEND
	;;#ASMSTART
	v_cvt_off_f32_i4 v2, v2
	;;#ASMEND
	;; [unrolled: 3-line block ×31, first 2 shown]
	scratch_load_b128 v[20:23], off, s33 offset:128
	v_dual_mov_b32 v24, 0 :: v_dual_mov_b32 v25, 0
	v_dual_mov_b32 v26, 0 :: v_dual_mov_b32 v27, 0
	v_dual_mov_b32 v28, 0 :: v_dual_mov_b32 v29, 0
	v_dual_mov_b32 v30, 0 :: v_dual_mov_b32 v31, 0
	s_delay_alu instid0(VALU_DEP_4)
	v_cvt_pk_fp8_f32 v24, v0, v1
	v_cvt_pk_fp8_f32 v25, v2, v71
	;; [unrolled: 1-line block ×8, first 2 shown]
	v_cvt_pk_fp8_f32 v24, v80, v81 op_sel:[0,0,1]
	v_cvt_pk_fp8_f32 v25, v82, v83 op_sel:[0,0,1]
	;; [unrolled: 1-line block ×8, first 2 shown]
	s_clause 0x1
	scratch_store_b128 off, v[24:27], s33 offset:576
	scratch_store_b128 off, v[28:31], s33 offset:592
	s_wait_loadcnt 0x0
	;;#ASMSTART
	v_cvt_off_f32_i4 v0, v20
	;;#ASMEND
	v_ashrrev_i32_e32 v1, 16, v20
	v_ashrrev_i32_e32 v2, 8, v20
	;; [unrolled: 1-line block ×28, first 2 shown]
	;;#ASMSTART
	v_cvt_off_f32_i4 v1, v1
	;;#ASMEND
	;;#ASMSTART
	v_cvt_off_f32_i4 v2, v2
	;;#ASMEND
	;; [unrolled: 3-line block ×31, first 2 shown]
	scratch_load_b128 v[20:23], off, s33 offset:192
	v_dual_mov_b32 v24, 0 :: v_dual_mov_b32 v25, 0
	v_dual_mov_b32 v26, 0 :: v_dual_mov_b32 v27, 0
	;; [unrolled: 1-line block ×4, first 2 shown]
	s_delay_alu instid0(VALU_DEP_4)
	v_cvt_pk_fp8_f32 v24, v0, v1
	v_cvt_pk_fp8_f32 v25, v2, v71
	;; [unrolled: 1-line block ×8, first 2 shown]
	v_cvt_pk_fp8_f32 v24, v80, v81 op_sel:[0,0,1]
	v_cvt_pk_fp8_f32 v25, v82, v83 op_sel:[0,0,1]
	;; [unrolled: 1-line block ×8, first 2 shown]
	s_clause 0x1
	scratch_store_b128 off, v[24:27], s33 offset:640
	scratch_store_b128 off, v[28:31], s33 offset:656
	s_wait_loadcnt 0x0
	;;#ASMSTART
	v_cvt_off_f32_i4 v0, v20
	;;#ASMEND
	v_ashrrev_i32_e32 v1, 16, v20
	v_ashrrev_i32_e32 v2, 8, v20
	;; [unrolled: 1-line block ×28, first 2 shown]
	;;#ASMSTART
	v_cvt_off_f32_i4 v1, v1
	;;#ASMEND
	;;#ASMSTART
	v_cvt_off_f32_i4 v2, v2
	;;#ASMEND
	;; [unrolled: 3-line block ×31, first 2 shown]
	scratch_load_b128 v[20:23], off, s33 offset:224
	v_dual_mov_b32 v24, 0 :: v_dual_mov_b32 v25, 0
	v_dual_mov_b32 v26, 0 :: v_dual_mov_b32 v27, 0
	;; [unrolled: 1-line block ×4, first 2 shown]
	s_delay_alu instid0(VALU_DEP_4)
	v_cvt_pk_fp8_f32 v24, v0, v1
	v_cvt_pk_fp8_f32 v25, v2, v71
	;; [unrolled: 1-line block ×8, first 2 shown]
	v_cvt_pk_fp8_f32 v24, v80, v81 op_sel:[0,0,1]
	v_cvt_pk_fp8_f32 v25, v82, v83 op_sel:[0,0,1]
	;; [unrolled: 1-line block ×8, first 2 shown]
	s_clause 0x1
	scratch_store_b128 off, v[24:27], s33 offset:704
	scratch_store_b128 off, v[28:31], s33 offset:720
	s_wait_loadcnt 0x0
	;;#ASMSTART
	v_cvt_off_f32_i4 v0, v20
	;;#ASMEND
	v_ashrrev_i32_e32 v1, 16, v20
	v_ashrrev_i32_e32 v2, 8, v20
	;; [unrolled: 1-line block ×28, first 2 shown]
	;;#ASMSTART
	v_cvt_off_f32_i4 v1, v1
	;;#ASMEND
	;;#ASMSTART
	v_cvt_off_f32_i4 v2, v2
	;;#ASMEND
	;; [unrolled: 3-line block ×31, first 2 shown]
	scratch_load_b128 v[20:23], off, s33 offset:160
	v_dual_mov_b32 v24, 0 :: v_dual_mov_b32 v25, 0
	v_dual_mov_b32 v26, 0 :: v_dual_mov_b32 v27, 0
	;; [unrolled: 1-line block ×4, first 2 shown]
	s_delay_alu instid0(VALU_DEP_4)
	v_cvt_pk_fp8_f32 v24, v0, v1
	v_cvt_pk_fp8_f32 v25, v2, v71
	;; [unrolled: 1-line block ×8, first 2 shown]
	v_cvt_pk_fp8_f32 v24, v80, v81 op_sel:[0,0,1]
	v_cvt_pk_fp8_f32 v25, v82, v83 op_sel:[0,0,1]
	;; [unrolled: 1-line block ×8, first 2 shown]
	s_clause 0x1
	scratch_store_b128 off, v[24:27], s33 offset:736
	scratch_store_b128 off, v[28:31], s33 offset:752
	s_wait_loadcnt 0x0
	;;#ASMSTART
	v_cvt_off_f32_i4 v0, v20
	;;#ASMEND
	v_ashrrev_i32_e32 v1, 16, v20
	v_ashrrev_i32_e32 v2, 8, v20
	;; [unrolled: 1-line block ×28, first 2 shown]
	;;#ASMSTART
	v_cvt_off_f32_i4 v1, v1
	;;#ASMEND
	;;#ASMSTART
	v_cvt_off_f32_i4 v2, v2
	;;#ASMEND
	;; [unrolled: 3-line block ×31, first 2 shown]
	scratch_load_b128 v[20:23], off, s33 offset:96
	v_dual_mov_b32 v24, 0 :: v_dual_mov_b32 v25, 0
	v_dual_mov_b32 v26, 0 :: v_dual_mov_b32 v27, 0
	;; [unrolled: 1-line block ×4, first 2 shown]
	s_delay_alu instid0(VALU_DEP_4)
	v_cvt_pk_fp8_f32 v24, v0, v1
	v_cvt_pk_fp8_f32 v25, v2, v71
	;; [unrolled: 1-line block ×8, first 2 shown]
	v_cvt_pk_fp8_f32 v24, v80, v81 op_sel:[0,0,1]
	v_cvt_pk_fp8_f32 v25, v82, v83 op_sel:[0,0,1]
	v_cvt_pk_fp8_f32 v26, v96, v32 op_sel:[0,0,1]
	v_cvt_pk_fp8_f32 v27, v33, v34 op_sel:[0,0,1]
	v_cvt_pk_fp8_f32 v28, v38, v39 op_sel:[0,0,1]
	v_cvt_pk_fp8_f32 v29, v48, v49 op_sel:[0,0,1]
	v_cvt_pk_fp8_f32 v30, v67, v68 op_sel:[0,0,1]
	v_cvt_pk_fp8_f32 v31, v69, v70 op_sel:[0,0,1]
	s_clause 0x1
	scratch_store_b128 off, v[24:27], s33 offset:672
	scratch_store_b128 off, v[28:31], s33 offset:688
	s_wait_loadcnt 0x0
	;;#ASMSTART
	v_cvt_off_f32_i4 v0, v20
	;;#ASMEND
	v_ashrrev_i32_e32 v1, 16, v20
	v_ashrrev_i32_e32 v2, 8, v20
	v_ashrrev_i32_e32 v24, 24, v20
	v_ashrrev_i32_e32 v25, 4, v20
	v_ashrrev_i32_e32 v26, 20, v20
	v_ashrrev_i32_e32 v27, 12, v20
	v_ashrrev_i32_e32 v20, 28, v20
	v_ashrrev_i32_e32 v37, 24, v22
	v_ashrrev_i32_e32 v38, 4, v22
	v_ashrrev_i32_e32 v39, 20, v22
	v_ashrrev_i32_e32 v48, 12, v22
	v_ashrrev_i32_e32 v49, 28, v22
	v_ashrrev_i32_e32 v50, 16, v23
	v_ashrrev_i32_e32 v51, 8, v23
	v_ashrrev_i32_e32 v66, 24, v23
	v_ashrrev_i32_e32 v67, 4, v23
	v_ashrrev_i32_e32 v68, 20, v23
	v_ashrrev_i32_e32 v69, 12, v23
	v_ashrrev_i32_e32 v70, 28, v23
	v_ashrrev_i32_e32 v28, 16, v21
	v_ashrrev_i32_e32 v29, 8, v21
	v_ashrrev_i32_e32 v30, 24, v21
	v_ashrrev_i32_e32 v31, 4, v21
	v_ashrrev_i32_e32 v32, 20, v21
	v_ashrrev_i32_e32 v33, 12, v21
	v_ashrrev_i32_e32 v34, 28, v21
	v_ashrrev_i32_e32 v35, 16, v22
	v_ashrrev_i32_e32 v36, 8, v22
	;;#ASMSTART
	v_cvt_off_f32_i4 v1, v1
	;;#ASMEND
	;;#ASMSTART
	v_cvt_off_f32_i4 v2, v2
	;;#ASMEND
	;; [unrolled: 3-line block ×31, first 2 shown]
	scratch_load_b128 v[20:23], off, s33 offset:32
	v_dual_mov_b32 v24, 0 :: v_dual_mov_b32 v25, 0
	v_dual_mov_b32 v26, 0 :: v_dual_mov_b32 v27, 0
	;; [unrolled: 1-line block ×4, first 2 shown]
	s_delay_alu instid0(VALU_DEP_4)
	v_cvt_pk_fp8_f32 v24, v0, v1
	v_cvt_pk_fp8_f32 v25, v2, v71
	;; [unrolled: 1-line block ×8, first 2 shown]
	v_cvt_pk_fp8_f32 v24, v80, v81 op_sel:[0,0,1]
	v_cvt_pk_fp8_f32 v25, v82, v83 op_sel:[0,0,1]
	;; [unrolled: 1-line block ×8, first 2 shown]
	v_dual_mov_b32 v32, 0 :: v_dual_mov_b32 v33, 0
	v_dual_mov_b32 v34, 0 :: v_dual_mov_b32 v35, 0
	;; [unrolled: 1-line block ×4, first 2 shown]
	s_clause 0x1
	scratch_store_b128 off, v[24:27], s33 offset:608
	scratch_store_b128 off, v[28:31], s33 offset:624
	s_wait_loadcnt 0x0
	;;#ASMSTART
	v_cvt_off_f32_i4 v0, v20
	;;#ASMEND
	v_ashrrev_i32_e32 v1, 16, v20
	v_ashrrev_i32_e32 v2, 8, v20
	;; [unrolled: 1-line block ×28, first 2 shown]
	;;#ASMSTART
	v_cvt_off_f32_i4 v1, v1
	;;#ASMEND
	;;#ASMSTART
	v_cvt_off_f32_i4 v2, v2
	;;#ASMEND
	;; [unrolled: 3-line block ×27, first 2 shown]
	v_cvt_pk_fp8_f32 v32, v0, v1
	v_cvt_pk_fp8_f32 v33, v2, v24
	;; [unrolled: 1-line block ×8, first 2 shown]
	;;#ASMSTART
	v_cvt_off_f32_i4 v83, v83
	;;#ASMEND
	;;#ASMSTART
	v_cvt_off_f32_i4 v84, v84
	;;#ASMEND
	;; [unrolled: 3-line block ×4, first 2 shown]
	v_cvt_pk_fp8_f32 v32, v25, v26 op_sel:[0,0,1]
	v_cvt_pk_fp8_f32 v33, v27, v20 op_sel:[0,0,1]
	;; [unrolled: 1-line block ×8, first 2 shown]
	s_clause 0x1
	scratch_store_b128 off, v[32:35], s33 offset:544
	scratch_store_b128 off, v[36:39], s33 offset:560
	; sched_barrier mask(0x00000000)
	scratch_load_b128 v[36:39], off, s33 offset:512
	s_clause 0x1
	flat_load_b128 v[24:27], v[52:53] offset:400
	flat_load_b128 v[20:23], v[52:53] offset:384
	scratch_load_b128 v[48:51], off, s33 offset:576
	s_clause 0x1
	flat_load_b128 v[32:35], v[52:53] offset:432
	flat_load_b128 v[28:31], v[52:53] offset:416
	s_clause 0x2
	scratch_load_b128 v[66:69], off, s33 offset:528
	scratch_load_b128 v[112:115], off, s33 offset:592
	;; [unrolled: 1-line block ×3, first 2 shown]
	s_clause 0x1
	flat_load_b128 v[84:87], v[52:53] offset:464
	flat_load_b128 v[80:83], v[52:53] offset:448
	scratch_load_b128 v[128:131], off, s33 offset:704
	s_clause 0x1
	flat_load_b128 v[100:103], v[52:53] offset:496
	flat_load_b128 v[96:99], v[52:53] offset:480
	s_clause 0x2
	scratch_load_b128 v[132:135], off, s33 offset:656
	scratch_load_b128 v[144:147], off, s33 offset:720
	scratch_load_b128 v[148:151], off, s33 offset:544
	s_wait_loadcnt_dscnt 0xe06
	v_wmma_f32_16x16x16_fp8_fp8 v[20:27], v[16:17], v[36:37], v[20:27]
	s_wait_loadcnt_dscnt 0xb04
	v_wmma_f32_16x16x16_fp8_fp8 v[28:35], v[16:17], v[48:49], v[28:35]
	s_delay_alu instid0(VALU_DEP_2)
	v_wmma_f32_16x16x16_fp8_fp8 v[20:27], v[18:19], v[38:39], v[20:27]
	scratch_load_b128 v[36:39], off, s33 offset:608
	v_wmma_f32_16x16x16_fp8_fp8 v[28:35], v[18:19], v[50:51], v[28:35]
	scratch_load_b128 v[48:51], off, s33 offset:560
	s_wait_loadcnt 0xc
	v_wmma_f32_16x16x16_fp8_fp8 v[20:27], v[12:13], v[66:67], v[20:27]
	s_wait_loadcnt 0xb
	v_wmma_f32_16x16x16_fp8_fp8 v[28:35], v[12:13], v[112:113], v[28:35]
	s_delay_alu instid0(VALU_DEP_2)
	v_wmma_f32_16x16x16_fp8_fp8 v[20:27], v[14:15], v[68:69], v[20:27]
	scratch_load_b128 v[66:69], off, s33 offset:624
	v_wmma_f32_16x16x16_fp8_fp8 v[28:35], v[14:15], v[114:115], v[28:35]
	s_wait_loadcnt_dscnt 0x902
	v_wmma_f32_16x16x16_fp8_fp8 v[80:87], v[16:17], v[116:117], v[80:87]
	scratch_load_b128 v[112:115], off, s33 offset:672
	s_wait_loadcnt_dscnt 0x700
	v_wmma_f32_16x16x16_fp8_fp8 v[96:103], v[16:17], v[128:129], v[96:103]
	; sched_group_barrier mask(0x00000008) size(8) SyncID(0)
	; sched_group_barrier mask(0x00000100) size(1) SyncID(0)
	v_wmma_f32_16x16x16_fp8_fp8 v[80:87], v[18:19], v[118:119], v[80:87]
	scratch_load_b128 v[116:119], off, s33 offset:736
	v_wmma_f32_16x16x16_fp8_fp8 v[96:103], v[18:19], v[130:131], v[96:103]
	s_clause 0x1
	scratch_load_b128 v[16:19], off, s33 offset:688
	scratch_load_b128 v[128:131], off, s33 offset:752
	s_wait_loadcnt 0x9
	v_wmma_f32_16x16x16_fp8_fp8 v[80:87], v[12:13], v[132:133], v[80:87]
	s_wait_loadcnt 0x8
	v_wmma_f32_16x16x16_fp8_fp8 v[96:103], v[12:13], v[144:145], v[96:103]
	s_delay_alu instid0(VALU_DEP_2) | instskip(NEXT) | instid1(VALU_DEP_2)
	v_wmma_f32_16x16x16_fp8_fp8 v[80:87], v[14:15], v[134:135], v[80:87]
	v_wmma_f32_16x16x16_fp8_fp8 v[96:103], v[14:15], v[146:147], v[96:103]
	s_wait_loadcnt 0x7
	v_wmma_f32_16x16x16_fp8_fp8 v[20:27], v[8:9], v[148:149], v[20:27]
	; sched_group_barrier mask(0x00000008) size(8) SyncID(0)
	; sched_group_barrier mask(0x00000100) size(1) SyncID(0)
	s_delay_alu instid0(VALU_DEP_1) | instskip(SKIP_3) | instid1(VALU_DEP_2)
	v_wmma_f32_16x16x16_fp8_fp8 v[20:27], v[10:11], v[150:151], v[20:27]
	s_wait_loadcnt 0x6
	v_wmma_f32_16x16x16_fp8_fp8 v[28:35], v[8:9], v[36:37], v[28:35]
	s_wait_loadcnt 0x5
	v_wmma_f32_16x16x16_fp8_fp8 v[20:27], v[4:5], v[48:49], v[20:27]
	s_delay_alu instid0(VALU_DEP_2)
	v_wmma_f32_16x16x16_fp8_fp8 v[28:35], v[10:11], v[38:39], v[28:35]
	scratch_load_b128 v[36:39], off, s33
	v_wmma_f32_16x16x16_fp8_fp8 v[20:27], v[6:7], v[50:51], v[20:27]
	s_wait_loadcnt 0x5
	v_wmma_f32_16x16x16_fp8_fp8 v[28:35], v[4:5], v[66:67], v[28:35]
	s_clause 0x1
	flat_store_b128 v[52:53], v[20:23] offset:384
	flat_store_b128 v[52:53], v[24:27] offset:400
	v_wmma_f32_16x16x16_fp8_fp8 v[28:35], v[6:7], v[68:69], v[28:35]
	s_wait_loadcnt 0x4
	v_wmma_f32_16x16x16_fp8_fp8 v[80:87], v[8:9], v[112:113], v[80:87]
	; sched_group_barrier mask(0x00000008) size(8) SyncID(0)
	; sched_group_barrier mask(0x00000100) size(1) SyncID(0)
	s_wait_loadcnt 0x3
	v_wmma_f32_16x16x16_fp8_fp8 v[96:103], v[8:9], v[116:117], v[96:103]
	flat_store_b128 v[52:53], v[28:31] offset:416
	v_wmma_f32_16x16x16_fp8_fp8 v[80:87], v[10:11], v[114:115], v[80:87]
	flat_store_b128 v[52:53], v[32:35] offset:432
	v_wmma_f32_16x16x16_fp8_fp8 v[96:103], v[10:11], v[118:119], v[96:103]
	s_wait_loadcnt 0x2
	v_wmma_f32_16x16x16_fp8_fp8 v[80:87], v[4:5], v[16:17], v[80:87]
	s_wait_loadcnt 0x1
	s_delay_alu instid0(VALU_DEP_2) | instskip(NEXT) | instid1(VALU_DEP_2)
	v_wmma_f32_16x16x16_fp8_fp8 v[96:103], v[4:5], v[128:129], v[96:103]
	v_wmma_f32_16x16x16_fp8_fp8 v[80:87], v[6:7], v[18:19], v[80:87]
	s_delay_alu instid0(VALU_DEP_2)
	v_wmma_f32_16x16x16_fp8_fp8 v[96:103], v[6:7], v[130:131], v[96:103]
	; sched_group_barrier mask(0x00000008) size(8) SyncID(0)
	; sched_group_barrier mask(0x00000100) size(1) SyncID(0)
	s_clause 0x3
	flat_store_b128 v[52:53], v[84:87] offset:464
	flat_store_b128 v[52:53], v[80:83] offset:448
	;; [unrolled: 1-line block ×4, first 2 shown]
	s_clause 0x3
	flat_load_b64 v[8:9], v[64:65] offset:1148
	flat_load_b64 v[10:11], v[64:65] offset:1164
	flat_load_b128 v[4:7], v[64:65] offset:1176
	flat_load_b96 v[0:2], v[64:65] offset:1132
	flat_load_b64 v[12:13], v[54:55]
	s_wait_loadcnt 0x5
	v_ashrrev_i32_e32 v22, 16, v36
	v_ashrrev_i32_e32 v23, 8, v36
	;; [unrolled: 1-line block ×27, first 2 shown]
	s_wait_loadcnt_dscnt 0x303
	v_sub_nc_u32_e32 v8, v8, v11
	s_wait_loadcnt_dscnt 0x202
	v_add_nc_u32_e32 v14, 16, v7
	v_add_nc_u32_e32 v4, v10, v4
	v_sub_nc_u32_e32 v11, v9, v10
	s_wait_loadcnt_dscnt 0x101
	v_sub_nc_u32_e32 v6, v0, v6
	v_add3_u32 v5, v8, v5, 0x80
	v_add_nc_u32_e32 v8, 64, v7
	v_add_nc_u32_e32 v7, 0x50, v7
	v_ashrrev_i32_e32 v10, 31, v14
	v_sub_nc_u32_e32 v4, v9, v4
	v_ashrrev_i32_e32 v9, 31, v5
	v_ashrrev_i32_e32 v15, 31, v8
	;; [unrolled: 1-line block ×3, first 2 shown]
	v_lshrrev_b32_e32 v10, 28, v10
	v_sub_nc_u32_e32 v2, v5, v2
	v_lshrrev_b32_e32 v9, 29, v9
	v_lshrrev_b32_e32 v15, 28, v15
	v_lshrrev_b32_e32 v16, 28, v16
	v_add_nc_u32_e32 v10, v14, v10
	v_lshlrev_b32_e32 v2, 7, v2
	v_add_nc_u32_e32 v9, v5, v9
	v_add_nc_u32_e32 v15, v8, v15
	;; [unrolled: 1-line block ×3, first 2 shown]
	v_lshrrev_b32_e32 v17, 4, v10
	v_and_b32_e32 v10, -16, v10
	v_and_b32_e32 v9, -8, v9
	v_lshrrev_b32_e32 v18, 4, v15
	v_lshrrev_b32_e32 v19, 4, v16
	v_and_b32_e32 v15, -16, v15
	v_sub_nc_u32_e32 v10, v14, v10
	v_sub_nc_u32_e32 v5, v5, v9
	v_and_b32_e32 v9, -16, v16
	v_add_nc_u32_e32 v16, v17, v4
	v_add_nc_u32_e32 v17, v18, v4
	;; [unrolled: 1-line block ×3, first 2 shown]
	v_xor_b32_e32 v11, v5, v11
	v_add_nc_u32_e32 v6, v6, v2
	v_xor_b32_e32 v14, v16, v5
	v_xor_b32_e32 v16, v17, v5
	;; [unrolled: 1-line block ×3, first 2 shown]
	v_sub_nc_u32_e32 v5, v11, v1
	v_sub_nc_u32_e32 v8, v8, v15
	;; [unrolled: 1-line block ×5, first 2 shown]
	v_lshlrev_b32_e32 v4, 4, v5
	v_sub_nc_u32_e32 v5, v7, v9
	v_lshlrev_b32_e32 v7, 4, v11
	v_lshlrev_b32_e32 v9, 4, v14
	;; [unrolled: 1-line block ×3, first 2 shown]
	v_add3_u32 v0, v2, v0, v4
	v_ashrrev_i32_e32 v2, 12, v39
	v_add3_u32 v4, v10, v6, v7
	v_add3_u32 v7, v8, v6, v9
	;; [unrolled: 1-line block ×3, first 2 shown]
	v_ashrrev_i32_e32 v5, 31, v0
	s_wait_loadcnt_dscnt 0x0
	v_add_co_u32 v0, vcc_lo, v12, v0
	v_ashrrev_i32_e32 v8, 31, v4
	v_ashrrev_i32_e32 v9, 31, v7
	;; [unrolled: 1-line block ×3, first 2 shown]
	v_add_co_u32 v4, s0, v12, v4
	v_add_co_u32 v6, s1, v12, v7
	;; [unrolled: 1-line block ×3, first 2 shown]
	s_wait_alu 0xfffd
	v_add_co_ci_u32_e64 v1, null, v13, v5, vcc_lo
	s_wait_alu 0xf1ff
	v_add_co_ci_u32_e64 v5, null, v13, v8, s0
	v_add_co_ci_u32_e64 v7, null, v13, v9, s1
	;; [unrolled: 1-line block ×3, first 2 shown]
	s_clause 0x3
	flat_load_b128 v[16:19], v[0:1]
	flat_load_b128 v[12:15], v[4:5]
	;; [unrolled: 1-line block ×4, first 2 shown]
	;;#ASMSTART
	v_cvt_off_f32_i4 v0, v36
	;;#ASMEND
	;;#ASMSTART
	v_cvt_off_f32_i4 v1, v22
	;;#ASMEND
	;;#ASMSTART
	v_cvt_off_f32_i4 v36, v23
	;;#ASMEND
	;;#ASMSTART
	v_cvt_off_f32_i4 v83, v24
	;;#ASMEND
	;;#ASMSTART
	v_cvt_off_f32_i4 v84, v25
	;;#ASMEND
	;;#ASMSTART
	v_cvt_off_f32_i4 v85, v26
	;;#ASMEND
	;;#ASMSTART
	v_cvt_off_f32_i4 v86, v27
	;;#ASMEND
	;;#ASMSTART
	v_cvt_off_f32_i4 v87, v28
	;;#ASMEND
	;;#ASMSTART
	v_cvt_off_f32_i4 v37, v37
	;;#ASMEND
	;;#ASMSTART
	v_cvt_off_f32_i4 v96, v29
	;;#ASMEND
	;;#ASMSTART
	v_cvt_off_f32_i4 v97, v30
	;;#ASMEND
	;;#ASMSTART
	v_cvt_off_f32_i4 v98, v31
	;;#ASMEND
	;;#ASMSTART
	v_cvt_off_f32_i4 v32, v32
	;;#ASMEND
	;;#ASMSTART
	v_cvt_off_f32_i4 v33, v33
	;;#ASMEND
	;;#ASMSTART
	v_cvt_off_f32_i4 v34, v34
	;;#ASMEND
	;;#ASMSTART
	v_cvt_off_f32_i4 v35, v35
	;;#ASMEND
	;;#ASMSTART
	v_cvt_off_f32_i4 v38, v38
	;;#ASMEND
	;;#ASMSTART
	v_cvt_off_f32_i4 v48, v48
	;;#ASMEND
	;;#ASMSTART
	v_cvt_off_f32_i4 v49, v49
	;;#ASMEND
	;;#ASMSTART
	v_cvt_off_f32_i4 v50, v50
	;;#ASMEND
	;;#ASMSTART
	v_cvt_off_f32_i4 v51, v51
	;;#ASMEND
	;;#ASMSTART
	v_cvt_off_f32_i4 v66, v66
	;;#ASMEND
	;;#ASMSTART
	v_cvt_off_f32_i4 v67, v67
	;;#ASMEND
	;;#ASMSTART
	v_cvt_off_f32_i4 v68, v68
	;;#ASMEND
	;;#ASMSTART
	v_cvt_off_f32_i4 v39, v39
	;;#ASMEND
	;;#ASMSTART
	v_cvt_off_f32_i4 v69, v69
	;;#ASMEND
	;;#ASMSTART
	v_cvt_off_f32_i4 v70, v70
	;;#ASMEND
	;;#ASMSTART
	v_cvt_off_f32_i4 v71, v71
	;;#ASMEND
	;;#ASMSTART
	v_cvt_off_f32_i4 v80, v80
	;;#ASMEND
	;;#ASMSTART
	v_cvt_off_f32_i4 v81, v81
	;;#ASMEND
	;;#ASMSTART
	v_cvt_off_f32_i4 v2, v2
	;;#ASMEND
	;;#ASMSTART
	v_cvt_off_f32_i4 v82, v82
	;;#ASMEND
	scratch_load_b128 v[20:23], off, s33 offset:64
	v_dual_mov_b32 v24, 0 :: v_dual_mov_b32 v25, 0
	v_dual_mov_b32 v26, 0 :: v_dual_mov_b32 v27, 0
	;; [unrolled: 1-line block ×4, first 2 shown]
	s_delay_alu instid0(VALU_DEP_4)
	v_cvt_pk_fp8_f32 v24, v0, v1
	v_cvt_pk_fp8_f32 v25, v36, v83
	;; [unrolled: 1-line block ×8, first 2 shown]
	v_cvt_pk_fp8_f32 v24, v84, v85 op_sel:[0,0,1]
	v_cvt_pk_fp8_f32 v25, v86, v87 op_sel:[0,0,1]
	;; [unrolled: 1-line block ×8, first 2 shown]
	s_clause 0x1
	scratch_store_b128 off, v[24:27], s33 offset:512
	scratch_store_b128 off, v[28:31], s33 offset:528
	s_wait_loadcnt 0x0
	;;#ASMSTART
	v_cvt_off_f32_i4 v0, v20
	;;#ASMEND
	v_ashrrev_i32_e32 v1, 16, v20
	v_ashrrev_i32_e32 v2, 8, v20
	;; [unrolled: 1-line block ×28, first 2 shown]
	;;#ASMSTART
	v_cvt_off_f32_i4 v1, v1
	;;#ASMEND
	;;#ASMSTART
	v_cvt_off_f32_i4 v2, v2
	;;#ASMEND
	;; [unrolled: 3-line block ×31, first 2 shown]
	scratch_load_b128 v[20:23], off, s33 offset:128
	v_dual_mov_b32 v24, 0 :: v_dual_mov_b32 v25, 0
	v_dual_mov_b32 v26, 0 :: v_dual_mov_b32 v27, 0
	;; [unrolled: 1-line block ×4, first 2 shown]
	s_delay_alu instid0(VALU_DEP_4)
	v_cvt_pk_fp8_f32 v24, v0, v1
	v_cvt_pk_fp8_f32 v25, v2, v71
	;; [unrolled: 1-line block ×8, first 2 shown]
	v_cvt_pk_fp8_f32 v24, v80, v81 op_sel:[0,0,1]
	v_cvt_pk_fp8_f32 v25, v82, v83 op_sel:[0,0,1]
	;; [unrolled: 1-line block ×8, first 2 shown]
	s_clause 0x1
	scratch_store_b128 off, v[24:27], s33 offset:576
	scratch_store_b128 off, v[28:31], s33 offset:592
	s_wait_loadcnt 0x0
	;;#ASMSTART
	v_cvt_off_f32_i4 v0, v20
	;;#ASMEND
	v_ashrrev_i32_e32 v1, 16, v20
	v_ashrrev_i32_e32 v2, 8, v20
	;; [unrolled: 1-line block ×28, first 2 shown]
	;;#ASMSTART
	v_cvt_off_f32_i4 v1, v1
	;;#ASMEND
	;;#ASMSTART
	v_cvt_off_f32_i4 v2, v2
	;;#ASMEND
	;; [unrolled: 3-line block ×31, first 2 shown]
	scratch_load_b128 v[20:23], off, s33 offset:192
	v_dual_mov_b32 v24, 0 :: v_dual_mov_b32 v25, 0
	v_dual_mov_b32 v26, 0 :: v_dual_mov_b32 v27, 0
	;; [unrolled: 1-line block ×4, first 2 shown]
	s_delay_alu instid0(VALU_DEP_4)
	v_cvt_pk_fp8_f32 v24, v0, v1
	v_cvt_pk_fp8_f32 v25, v2, v71
	;; [unrolled: 1-line block ×8, first 2 shown]
	v_cvt_pk_fp8_f32 v24, v80, v81 op_sel:[0,0,1]
	v_cvt_pk_fp8_f32 v25, v82, v83 op_sel:[0,0,1]
	;; [unrolled: 1-line block ×8, first 2 shown]
	s_clause 0x1
	scratch_store_b128 off, v[24:27], s33 offset:640
	scratch_store_b128 off, v[28:31], s33 offset:656
	s_wait_loadcnt 0x0
	;;#ASMSTART
	v_cvt_off_f32_i4 v0, v20
	;;#ASMEND
	v_ashrrev_i32_e32 v1, 16, v20
	v_ashrrev_i32_e32 v2, 8, v20
	v_ashrrev_i32_e32 v24, 24, v20
	v_ashrrev_i32_e32 v25, 4, v20
	v_ashrrev_i32_e32 v26, 20, v20
	v_ashrrev_i32_e32 v27, 12, v20
	v_ashrrev_i32_e32 v20, 28, v20
	v_ashrrev_i32_e32 v32, 20, v21
	v_ashrrev_i32_e32 v33, 12, v21
	v_ashrrev_i32_e32 v34, 28, v21
	v_ashrrev_i32_e32 v35, 16, v22
	v_ashrrev_i32_e32 v36, 8, v22
	v_ashrrev_i32_e32 v37, 24, v22
	v_ashrrev_i32_e32 v38, 4, v22
	v_ashrrev_i32_e32 v39, 20, v22
	v_ashrrev_i32_e32 v48, 12, v22
	v_ashrrev_i32_e32 v49, 28, v22
	v_ashrrev_i32_e32 v50, 16, v23
	v_ashrrev_i32_e32 v51, 8, v23
	v_ashrrev_i32_e32 v66, 24, v23
	v_ashrrev_i32_e32 v67, 4, v23
	v_ashrrev_i32_e32 v68, 20, v23
	v_ashrrev_i32_e32 v69, 12, v23
	v_ashrrev_i32_e32 v70, 28, v23
	v_ashrrev_i32_e32 v28, 16, v21
	v_ashrrev_i32_e32 v29, 8, v21
	v_ashrrev_i32_e32 v30, 24, v21
	v_ashrrev_i32_e32 v31, 4, v21
	;;#ASMSTART
	v_cvt_off_f32_i4 v1, v1
	;;#ASMEND
	;;#ASMSTART
	v_cvt_off_f32_i4 v2, v2
	;;#ASMEND
	;; [unrolled: 3-line block ×31, first 2 shown]
	scratch_load_b128 v[20:23], off, s33 offset:224
	v_dual_mov_b32 v24, 0 :: v_dual_mov_b32 v25, 0
	v_dual_mov_b32 v26, 0 :: v_dual_mov_b32 v27, 0
	;; [unrolled: 1-line block ×4, first 2 shown]
	s_delay_alu instid0(VALU_DEP_4)
	v_cvt_pk_fp8_f32 v24, v0, v1
	v_cvt_pk_fp8_f32 v25, v2, v71
	;; [unrolled: 1-line block ×8, first 2 shown]
	v_cvt_pk_fp8_f32 v24, v80, v81 op_sel:[0,0,1]
	v_cvt_pk_fp8_f32 v25, v82, v83 op_sel:[0,0,1]
	;; [unrolled: 1-line block ×8, first 2 shown]
	s_clause 0x1
	scratch_store_b128 off, v[24:27], s33 offset:704
	scratch_store_b128 off, v[28:31], s33 offset:720
	s_wait_loadcnt 0x0
	;;#ASMSTART
	v_cvt_off_f32_i4 v0, v20
	;;#ASMEND
	v_ashrrev_i32_e32 v1, 16, v20
	v_ashrrev_i32_e32 v2, 8, v20
	;; [unrolled: 1-line block ×28, first 2 shown]
	;;#ASMSTART
	v_cvt_off_f32_i4 v1, v1
	;;#ASMEND
	;;#ASMSTART
	v_cvt_off_f32_i4 v2, v2
	;;#ASMEND
	;; [unrolled: 3-line block ×31, first 2 shown]
	scratch_load_b128 v[20:23], off, s33 offset:160
	v_dual_mov_b32 v24, 0 :: v_dual_mov_b32 v25, 0
	v_dual_mov_b32 v26, 0 :: v_dual_mov_b32 v27, 0
	;; [unrolled: 1-line block ×4, first 2 shown]
	s_delay_alu instid0(VALU_DEP_4)
	v_cvt_pk_fp8_f32 v24, v0, v1
	v_cvt_pk_fp8_f32 v25, v2, v71
	;; [unrolled: 1-line block ×8, first 2 shown]
	v_cvt_pk_fp8_f32 v24, v80, v81 op_sel:[0,0,1]
	v_cvt_pk_fp8_f32 v25, v82, v83 op_sel:[0,0,1]
	;; [unrolled: 1-line block ×8, first 2 shown]
	s_clause 0x1
	scratch_store_b128 off, v[24:27], s33 offset:736
	scratch_store_b128 off, v[28:31], s33 offset:752
	s_wait_loadcnt 0x0
	;;#ASMSTART
	v_cvt_off_f32_i4 v0, v20
	;;#ASMEND
	v_ashrrev_i32_e32 v1, 16, v20
	v_ashrrev_i32_e32 v2, 8, v20
	;; [unrolled: 1-line block ×28, first 2 shown]
	;;#ASMSTART
	v_cvt_off_f32_i4 v1, v1
	;;#ASMEND
	;;#ASMSTART
	v_cvt_off_f32_i4 v2, v2
	;;#ASMEND
	;;#ASMSTART
	v_cvt_off_f32_i4 v71, v24
	;;#ASMEND
	;;#ASMSTART
	v_cvt_off_f32_i4 v80, v25
	;;#ASMEND
	;;#ASMSTART
	v_cvt_off_f32_i4 v81, v26
	;;#ASMEND
	;;#ASMSTART
	v_cvt_off_f32_i4 v82, v27
	;;#ASMEND
	;;#ASMSTART
	v_cvt_off_f32_i4 v83, v20
	;;#ASMEND
	;;#ASMSTART
	v_cvt_off_f32_i4 v84, v21
	;;#ASMEND
	;;#ASMSTART
	v_cvt_off_f32_i4 v85, v28
	;;#ASMEND
	;;#ASMSTART
	v_cvt_off_f32_i4 v86, v29
	;;#ASMEND
	;;#ASMSTART
	v_cvt_off_f32_i4 v87, v30
	;;#ASMEND
	;;#ASMSTART
	v_cvt_off_f32_i4 v96, v31
	;;#ASMEND
	;;#ASMSTART
	v_cvt_off_f32_i4 v32, v32
	;;#ASMEND
	;;#ASMSTART
	v_cvt_off_f32_i4 v33, v33
	;;#ASMEND
	;;#ASMSTART
	v_cvt_off_f32_i4 v34, v34
	;;#ASMEND
	;;#ASMSTART
	v_cvt_off_f32_i4 v97, v22
	;;#ASMEND
	;;#ASMSTART
	v_cvt_off_f32_i4 v35, v35
	;;#ASMEND
	;;#ASMSTART
	v_cvt_off_f32_i4 v36, v36
	;;#ASMEND
	;;#ASMSTART
	v_cvt_off_f32_i4 v37, v37
	;;#ASMEND
	;;#ASMSTART
	v_cvt_off_f32_i4 v38, v38
	;;#ASMEND
	;;#ASMSTART
	v_cvt_off_f32_i4 v39, v39
	;;#ASMEND
	;;#ASMSTART
	v_cvt_off_f32_i4 v48, v48
	;;#ASMEND
	;;#ASMSTART
	v_cvt_off_f32_i4 v49, v49
	;;#ASMEND
	;;#ASMSTART
	v_cvt_off_f32_i4 v98, v23
	;;#ASMEND
	;;#ASMSTART
	v_cvt_off_f32_i4 v50, v50
	;;#ASMEND
	;;#ASMSTART
	v_cvt_off_f32_i4 v51, v51
	;;#ASMEND
	;;#ASMSTART
	v_cvt_off_f32_i4 v66, v66
	;;#ASMEND
	;;#ASMSTART
	v_cvt_off_f32_i4 v67, v67
	;;#ASMEND
	;;#ASMSTART
	v_cvt_off_f32_i4 v68, v68
	;;#ASMEND
	;;#ASMSTART
	v_cvt_off_f32_i4 v69, v69
	;;#ASMEND
	;;#ASMSTART
	v_cvt_off_f32_i4 v70, v70
	;;#ASMEND
	scratch_load_b128 v[20:23], off, s33 offset:96
	v_dual_mov_b32 v24, 0 :: v_dual_mov_b32 v25, 0
	v_dual_mov_b32 v26, 0 :: v_dual_mov_b32 v27, 0
	;; [unrolled: 1-line block ×4, first 2 shown]
	s_delay_alu instid0(VALU_DEP_4)
	v_cvt_pk_fp8_f32 v24, v0, v1
	v_cvt_pk_fp8_f32 v25, v2, v71
	;; [unrolled: 1-line block ×8, first 2 shown]
	v_cvt_pk_fp8_f32 v24, v80, v81 op_sel:[0,0,1]
	v_cvt_pk_fp8_f32 v25, v82, v83 op_sel:[0,0,1]
	;; [unrolled: 1-line block ×8, first 2 shown]
	s_clause 0x1
	scratch_store_b128 off, v[24:27], s33 offset:672
	scratch_store_b128 off, v[28:31], s33 offset:688
	s_wait_loadcnt 0x0
	;;#ASMSTART
	v_cvt_off_f32_i4 v0, v20
	;;#ASMEND
	v_ashrrev_i32_e32 v1, 16, v20
	v_ashrrev_i32_e32 v2, 8, v20
	;; [unrolled: 1-line block ×28, first 2 shown]
	;;#ASMSTART
	v_cvt_off_f32_i4 v1, v1
	;;#ASMEND
	;;#ASMSTART
	v_cvt_off_f32_i4 v2, v2
	;;#ASMEND
	;; [unrolled: 3-line block ×31, first 2 shown]
	scratch_load_b128 v[20:23], off, s33 offset:32
	v_dual_mov_b32 v24, 0 :: v_dual_mov_b32 v25, 0
	v_dual_mov_b32 v26, 0 :: v_dual_mov_b32 v27, 0
	;; [unrolled: 1-line block ×4, first 2 shown]
	s_delay_alu instid0(VALU_DEP_4)
	v_cvt_pk_fp8_f32 v24, v0, v1
	v_cvt_pk_fp8_f32 v25, v2, v71
	;; [unrolled: 1-line block ×8, first 2 shown]
	v_cvt_pk_fp8_f32 v24, v80, v81 op_sel:[0,0,1]
	v_cvt_pk_fp8_f32 v25, v82, v83 op_sel:[0,0,1]
	;; [unrolled: 1-line block ×8, first 2 shown]
	v_dual_mov_b32 v32, 0 :: v_dual_mov_b32 v33, 0
	v_dual_mov_b32 v34, 0 :: v_dual_mov_b32 v35, 0
	;; [unrolled: 1-line block ×4, first 2 shown]
	s_clause 0x1
	scratch_store_b128 off, v[24:27], s33 offset:608
	scratch_store_b128 off, v[28:31], s33 offset:624
	s_wait_loadcnt 0x0
	;;#ASMSTART
	v_cvt_off_f32_i4 v0, v20
	;;#ASMEND
	v_ashrrev_i32_e32 v1, 16, v20
	v_ashrrev_i32_e32 v2, 8, v20
	;; [unrolled: 1-line block ×28, first 2 shown]
	;;#ASMSTART
	v_cvt_off_f32_i4 v1, v1
	;;#ASMEND
	;;#ASMSTART
	v_cvt_off_f32_i4 v2, v2
	;;#ASMEND
	;;#ASMSTART
	v_cvt_off_f32_i4 v24, v24
	;;#ASMEND
	;;#ASMSTART
	v_cvt_off_f32_i4 v25, v25
	;;#ASMEND
	;;#ASMSTART
	v_cvt_off_f32_i4 v26, v26
	;;#ASMEND
	;;#ASMSTART
	v_cvt_off_f32_i4 v27, v27
	;;#ASMEND
	;;#ASMSTART
	v_cvt_off_f32_i4 v20, v20
	;;#ASMEND
	;;#ASMSTART
	v_cvt_off_f32_i4 v21, v21
	;;#ASMEND
	;;#ASMSTART
	v_cvt_off_f32_i4 v28, v28
	;;#ASMEND
	;;#ASMSTART
	v_cvt_off_f32_i4 v29, v29
	;;#ASMEND
	;;#ASMSTART
	v_cvt_off_f32_i4 v30, v30
	;;#ASMEND
	;;#ASMSTART
	v_cvt_off_f32_i4 v31, v31
	;;#ASMEND
	;;#ASMSTART
	v_cvt_off_f32_i4 v48, v48
	;;#ASMEND
	;;#ASMSTART
	v_cvt_off_f32_i4 v49, v49
	;;#ASMEND
	;;#ASMSTART
	v_cvt_off_f32_i4 v50, v50
	;;#ASMEND
	;;#ASMSTART
	v_cvt_off_f32_i4 v22, v22
	;;#ASMEND
	;;#ASMSTART
	v_cvt_off_f32_i4 v51, v51
	;;#ASMEND
	;;#ASMSTART
	v_cvt_off_f32_i4 v66, v66
	;;#ASMEND
	;;#ASMSTART
	v_cvt_off_f32_i4 v67, v67
	;;#ASMEND
	;;#ASMSTART
	v_cvt_off_f32_i4 v68, v68
	;;#ASMEND
	;;#ASMSTART
	v_cvt_off_f32_i4 v69, v69
	;;#ASMEND
	;;#ASMSTART
	v_cvt_off_f32_i4 v70, v70
	;;#ASMEND
	;;#ASMSTART
	v_cvt_off_f32_i4 v71, v71
	;;#ASMEND
	;;#ASMSTART
	v_cvt_off_f32_i4 v23, v23
	;;#ASMEND
	;;#ASMSTART
	v_cvt_off_f32_i4 v80, v80
	;;#ASMEND
	;;#ASMSTART
	v_cvt_off_f32_i4 v81, v81
	;;#ASMEND
	;;#ASMSTART
	v_cvt_off_f32_i4 v82, v82
	;;#ASMEND
	v_cvt_pk_fp8_f32 v32, v0, v1
	v_cvt_pk_fp8_f32 v33, v2, v24
	;; [unrolled: 1-line block ×8, first 2 shown]
	;;#ASMSTART
	v_cvt_off_f32_i4 v83, v83
	;;#ASMEND
	;;#ASMSTART
	v_cvt_off_f32_i4 v84, v84
	;;#ASMEND
	;; [unrolled: 3-line block ×4, first 2 shown]
	v_cvt_pk_fp8_f32 v32, v25, v26 op_sel:[0,0,1]
	v_cvt_pk_fp8_f32 v33, v27, v20 op_sel:[0,0,1]
	;; [unrolled: 1-line block ×8, first 2 shown]
	s_clause 0x1
	scratch_store_b128 off, v[32:35], s33 offset:544
	scratch_store_b128 off, v[36:39], s33 offset:560
	; sched_barrier mask(0x00000000)
	scratch_load_b128 v[36:39], off, s33 offset:512
	s_clause 0x1
	flat_load_b128 v[24:27], v[52:53] offset:528
	flat_load_b128 v[20:23], v[52:53] offset:512
	scratch_load_b128 v[48:51], off, s33 offset:576
	s_clause 0x1
	flat_load_b128 v[32:35], v[52:53] offset:560
	flat_load_b128 v[28:31], v[52:53] offset:544
	s_clause 0x2
	scratch_load_b128 v[66:69], off, s33 offset:528
	scratch_load_b128 v[112:115], off, s33 offset:592
	;; [unrolled: 1-line block ×3, first 2 shown]
	s_clause 0x1
	flat_load_b128 v[84:87], v[52:53] offset:592
	flat_load_b128 v[80:83], v[52:53] offset:576
	scratch_load_b128 v[128:131], off, s33 offset:704
	s_clause 0x1
	flat_load_b128 v[100:103], v[52:53] offset:624
	flat_load_b128 v[96:99], v[52:53] offset:608
	s_clause 0x2
	scratch_load_b128 v[132:135], off, s33 offset:656
	scratch_load_b128 v[144:147], off, s33 offset:720
	;; [unrolled: 1-line block ×3, first 2 shown]
	s_wait_loadcnt_dscnt 0xe06
	v_wmma_f32_16x16x16_fp8_fp8 v[20:27], v[16:17], v[36:37], v[20:27]
	s_wait_loadcnt_dscnt 0xb04
	v_wmma_f32_16x16x16_fp8_fp8 v[28:35], v[16:17], v[48:49], v[28:35]
	s_delay_alu instid0(VALU_DEP_2)
	v_wmma_f32_16x16x16_fp8_fp8 v[20:27], v[18:19], v[38:39], v[20:27]
	scratch_load_b128 v[36:39], off, s33 offset:608
	v_wmma_f32_16x16x16_fp8_fp8 v[28:35], v[18:19], v[50:51], v[28:35]
	scratch_load_b128 v[48:51], off, s33 offset:560
	s_wait_loadcnt 0xc
	v_wmma_f32_16x16x16_fp8_fp8 v[20:27], v[12:13], v[66:67], v[20:27]
	s_wait_loadcnt 0xb
	v_wmma_f32_16x16x16_fp8_fp8 v[28:35], v[12:13], v[112:113], v[28:35]
	s_delay_alu instid0(VALU_DEP_2)
	v_wmma_f32_16x16x16_fp8_fp8 v[20:27], v[14:15], v[68:69], v[20:27]
	scratch_load_b128 v[66:69], off, s33 offset:624
	v_wmma_f32_16x16x16_fp8_fp8 v[28:35], v[14:15], v[114:115], v[28:35]
	s_wait_loadcnt_dscnt 0x902
	v_wmma_f32_16x16x16_fp8_fp8 v[80:87], v[16:17], v[116:117], v[80:87]
	scratch_load_b128 v[112:115], off, s33 offset:672
	s_wait_loadcnt_dscnt 0x700
	v_wmma_f32_16x16x16_fp8_fp8 v[96:103], v[16:17], v[128:129], v[96:103]
	; sched_group_barrier mask(0x00000008) size(8) SyncID(0)
	; sched_group_barrier mask(0x00000100) size(1) SyncID(0)
	v_wmma_f32_16x16x16_fp8_fp8 v[80:87], v[18:19], v[118:119], v[80:87]
	scratch_load_b128 v[116:119], off, s33 offset:736
	v_wmma_f32_16x16x16_fp8_fp8 v[96:103], v[18:19], v[130:131], v[96:103]
	s_clause 0x1
	scratch_load_b128 v[16:19], off, s33 offset:688
	scratch_load_b128 v[128:131], off, s33 offset:752
	s_wait_loadcnt 0x9
	v_wmma_f32_16x16x16_fp8_fp8 v[80:87], v[12:13], v[132:133], v[80:87]
	s_wait_loadcnt 0x8
	v_wmma_f32_16x16x16_fp8_fp8 v[96:103], v[12:13], v[144:145], v[96:103]
	s_delay_alu instid0(VALU_DEP_2) | instskip(NEXT) | instid1(VALU_DEP_2)
	v_wmma_f32_16x16x16_fp8_fp8 v[80:87], v[14:15], v[134:135], v[80:87]
	v_wmma_f32_16x16x16_fp8_fp8 v[96:103], v[14:15], v[146:147], v[96:103]
	s_wait_loadcnt 0x7
	v_wmma_f32_16x16x16_fp8_fp8 v[20:27], v[8:9], v[148:149], v[20:27]
	; sched_group_barrier mask(0x00000008) size(8) SyncID(0)
	; sched_group_barrier mask(0x00000100) size(1) SyncID(0)
	s_delay_alu instid0(VALU_DEP_1) | instskip(SKIP_3) | instid1(VALU_DEP_2)
	v_wmma_f32_16x16x16_fp8_fp8 v[20:27], v[10:11], v[150:151], v[20:27]
	s_wait_loadcnt 0x6
	v_wmma_f32_16x16x16_fp8_fp8 v[28:35], v[8:9], v[36:37], v[28:35]
	s_wait_loadcnt 0x5
	v_wmma_f32_16x16x16_fp8_fp8 v[20:27], v[4:5], v[48:49], v[20:27]
	s_delay_alu instid0(VALU_DEP_2)
	v_wmma_f32_16x16x16_fp8_fp8 v[28:35], v[10:11], v[38:39], v[28:35]
	scratch_load_b128 v[36:39], off, s33
	v_wmma_f32_16x16x16_fp8_fp8 v[20:27], v[6:7], v[50:51], v[20:27]
	s_wait_loadcnt 0x5
	v_wmma_f32_16x16x16_fp8_fp8 v[28:35], v[4:5], v[66:67], v[28:35]
	s_clause 0x1
	flat_store_b128 v[52:53], v[20:23] offset:512
	flat_store_b128 v[52:53], v[24:27] offset:528
	v_wmma_f32_16x16x16_fp8_fp8 v[28:35], v[6:7], v[68:69], v[28:35]
	s_wait_loadcnt 0x4
	v_wmma_f32_16x16x16_fp8_fp8 v[80:87], v[8:9], v[112:113], v[80:87]
	; sched_group_barrier mask(0x00000008) size(8) SyncID(0)
	; sched_group_barrier mask(0x00000100) size(1) SyncID(0)
	s_wait_loadcnt 0x3
	v_wmma_f32_16x16x16_fp8_fp8 v[96:103], v[8:9], v[116:117], v[96:103]
	flat_store_b128 v[52:53], v[28:31] offset:544
	v_wmma_f32_16x16x16_fp8_fp8 v[80:87], v[10:11], v[114:115], v[80:87]
	flat_store_b128 v[52:53], v[32:35] offset:560
	v_wmma_f32_16x16x16_fp8_fp8 v[96:103], v[10:11], v[118:119], v[96:103]
	s_wait_loadcnt 0x2
	v_wmma_f32_16x16x16_fp8_fp8 v[80:87], v[4:5], v[16:17], v[80:87]
	s_wait_loadcnt 0x1
	s_delay_alu instid0(VALU_DEP_2) | instskip(NEXT) | instid1(VALU_DEP_2)
	v_wmma_f32_16x16x16_fp8_fp8 v[96:103], v[4:5], v[128:129], v[96:103]
	v_wmma_f32_16x16x16_fp8_fp8 v[80:87], v[6:7], v[18:19], v[80:87]
	s_delay_alu instid0(VALU_DEP_2)
	v_wmma_f32_16x16x16_fp8_fp8 v[96:103], v[6:7], v[130:131], v[96:103]
	; sched_group_barrier mask(0x00000008) size(8) SyncID(0)
	; sched_group_barrier mask(0x00000100) size(1) SyncID(0)
	s_clause 0x3
	flat_store_b128 v[52:53], v[84:87] offset:592
	flat_store_b128 v[52:53], v[80:83] offset:576
	;; [unrolled: 1-line block ×4, first 2 shown]
	s_clause 0x3
	flat_load_b64 v[8:9], v[64:65] offset:1148
	flat_load_b64 v[10:11], v[64:65] offset:1164
	flat_load_b128 v[4:7], v[64:65] offset:1176
	flat_load_b96 v[0:2], v[64:65] offset:1132
	flat_load_b64 v[12:13], v[54:55]
	s_wait_loadcnt 0x5
	v_ashrrev_i32_e32 v22, 16, v36
	v_ashrrev_i32_e32 v23, 8, v36
	;; [unrolled: 1-line block ×27, first 2 shown]
	s_wait_loadcnt_dscnt 0x303
	v_sub_nc_u32_e32 v8, v8, v11
	s_wait_loadcnt_dscnt 0x202
	v_add_nc_u32_e32 v14, 16, v7
	v_add_nc_u32_e32 v4, v10, v4
	v_sub_nc_u32_e32 v11, v9, v10
	s_wait_loadcnt_dscnt 0x101
	v_sub_nc_u32_e32 v6, v0, v6
	v_add3_u32 v5, v8, v5, 0xa0
	v_add_nc_u32_e32 v8, 64, v7
	v_add_nc_u32_e32 v7, 0x50, v7
	v_ashrrev_i32_e32 v10, 31, v14
	v_sub_nc_u32_e32 v4, v9, v4
	v_ashrrev_i32_e32 v9, 31, v5
	v_ashrrev_i32_e32 v15, 31, v8
	;; [unrolled: 1-line block ×3, first 2 shown]
	v_lshrrev_b32_e32 v10, 28, v10
	v_sub_nc_u32_e32 v2, v5, v2
	v_lshrrev_b32_e32 v9, 29, v9
	v_lshrrev_b32_e32 v15, 28, v15
	;; [unrolled: 1-line block ×3, first 2 shown]
	v_add_nc_u32_e32 v10, v14, v10
	v_lshlrev_b32_e32 v2, 7, v2
	v_add_nc_u32_e32 v9, v5, v9
	v_add_nc_u32_e32 v15, v8, v15
	;; [unrolled: 1-line block ×3, first 2 shown]
	v_lshrrev_b32_e32 v17, 4, v10
	v_and_b32_e32 v10, -16, v10
	v_and_b32_e32 v9, -8, v9
	v_lshrrev_b32_e32 v18, 4, v15
	v_lshrrev_b32_e32 v19, 4, v16
	v_and_b32_e32 v15, -16, v15
	v_sub_nc_u32_e32 v10, v14, v10
	v_sub_nc_u32_e32 v5, v5, v9
	v_and_b32_e32 v9, -16, v16
	v_add_nc_u32_e32 v16, v17, v4
	v_add_nc_u32_e32 v17, v18, v4
	;; [unrolled: 1-line block ×3, first 2 shown]
	v_xor_b32_e32 v11, v5, v11
	v_add_nc_u32_e32 v6, v6, v2
	v_xor_b32_e32 v14, v16, v5
	v_xor_b32_e32 v16, v17, v5
	;; [unrolled: 1-line block ×3, first 2 shown]
	v_sub_nc_u32_e32 v5, v11, v1
	v_sub_nc_u32_e32 v8, v8, v15
	;; [unrolled: 1-line block ×5, first 2 shown]
	v_lshlrev_b32_e32 v4, 4, v5
	v_sub_nc_u32_e32 v5, v7, v9
	v_lshlrev_b32_e32 v7, 4, v11
	v_lshlrev_b32_e32 v9, 4, v14
	;; [unrolled: 1-line block ×3, first 2 shown]
	v_add3_u32 v0, v2, v0, v4
	v_ashrrev_i32_e32 v2, 12, v39
	v_add3_u32 v4, v10, v6, v7
	v_add3_u32 v7, v8, v6, v9
	;; [unrolled: 1-line block ×3, first 2 shown]
	v_ashrrev_i32_e32 v5, 31, v0
	s_wait_loadcnt_dscnt 0x0
	v_add_co_u32 v0, vcc_lo, v12, v0
	v_ashrrev_i32_e32 v8, 31, v4
	v_ashrrev_i32_e32 v9, 31, v7
	;; [unrolled: 1-line block ×3, first 2 shown]
	v_add_co_u32 v4, s0, v12, v4
	v_add_co_u32 v6, s1, v12, v7
	;; [unrolled: 1-line block ×3, first 2 shown]
	s_wait_alu 0xfffd
	v_add_co_ci_u32_e64 v1, null, v13, v5, vcc_lo
	s_wait_alu 0xf1ff
	v_add_co_ci_u32_e64 v5, null, v13, v8, s0
	v_add_co_ci_u32_e64 v7, null, v13, v9, s1
	;; [unrolled: 1-line block ×3, first 2 shown]
	s_clause 0x3
	flat_load_b128 v[16:19], v[0:1]
	flat_load_b128 v[12:15], v[4:5]
	;; [unrolled: 1-line block ×4, first 2 shown]
	;;#ASMSTART
	v_cvt_off_f32_i4 v0, v36
	;;#ASMEND
	;;#ASMSTART
	v_cvt_off_f32_i4 v1, v22
	;;#ASMEND
	;; [unrolled: 3-line block ×32, first 2 shown]
	scratch_load_b128 v[20:23], off, s33 offset:64
	v_dual_mov_b32 v24, 0 :: v_dual_mov_b32 v25, 0
	v_dual_mov_b32 v26, 0 :: v_dual_mov_b32 v27, 0
	;; [unrolled: 1-line block ×4, first 2 shown]
	s_delay_alu instid0(VALU_DEP_4)
	v_cvt_pk_fp8_f32 v24, v0, v1
	v_cvt_pk_fp8_f32 v25, v36, v83
	;; [unrolled: 1-line block ×8, first 2 shown]
	v_cvt_pk_fp8_f32 v24, v84, v85 op_sel:[0,0,1]
	v_cvt_pk_fp8_f32 v25, v86, v87 op_sel:[0,0,1]
	;; [unrolled: 1-line block ×8, first 2 shown]
	s_clause 0x1
	scratch_store_b128 off, v[24:27], s33 offset:512
	scratch_store_b128 off, v[28:31], s33 offset:528
	s_wait_loadcnt 0x0
	;;#ASMSTART
	v_cvt_off_f32_i4 v0, v20
	;;#ASMEND
	v_ashrrev_i32_e32 v1, 16, v20
	v_ashrrev_i32_e32 v2, 8, v20
	;; [unrolled: 1-line block ×28, first 2 shown]
	;;#ASMSTART
	v_cvt_off_f32_i4 v1, v1
	;;#ASMEND
	;;#ASMSTART
	v_cvt_off_f32_i4 v2, v2
	;;#ASMEND
	;; [unrolled: 3-line block ×31, first 2 shown]
	scratch_load_b128 v[20:23], off, s33 offset:128
	v_dual_mov_b32 v24, 0 :: v_dual_mov_b32 v25, 0
	v_dual_mov_b32 v26, 0 :: v_dual_mov_b32 v27, 0
	;; [unrolled: 1-line block ×4, first 2 shown]
	s_delay_alu instid0(VALU_DEP_4)
	v_cvt_pk_fp8_f32 v24, v0, v1
	v_cvt_pk_fp8_f32 v25, v2, v71
	v_cvt_pk_fp8_f32 v26, v84, v85
	v_cvt_pk_fp8_f32 v27, v86, v87
	v_cvt_pk_fp8_f32 v28, v97, v35
	v_cvt_pk_fp8_f32 v29, v36, v37
	v_cvt_pk_fp8_f32 v30, v98, v50
	v_cvt_pk_fp8_f32 v31, v51, v66
	v_cvt_pk_fp8_f32 v24, v80, v81 op_sel:[0,0,1]
	v_cvt_pk_fp8_f32 v25, v82, v83 op_sel:[0,0,1]
	;; [unrolled: 1-line block ×8, first 2 shown]
	s_clause 0x1
	scratch_store_b128 off, v[24:27], s33 offset:576
	scratch_store_b128 off, v[28:31], s33 offset:592
	s_wait_loadcnt 0x0
	;;#ASMSTART
	v_cvt_off_f32_i4 v0, v20
	;;#ASMEND
	v_ashrrev_i32_e32 v1, 16, v20
	v_ashrrev_i32_e32 v2, 8, v20
	;; [unrolled: 1-line block ×28, first 2 shown]
	;;#ASMSTART
	v_cvt_off_f32_i4 v1, v1
	;;#ASMEND
	;;#ASMSTART
	v_cvt_off_f32_i4 v2, v2
	;;#ASMEND
	;;#ASMSTART
	v_cvt_off_f32_i4 v71, v24
	;;#ASMEND
	;;#ASMSTART
	v_cvt_off_f32_i4 v80, v25
	;;#ASMEND
	;;#ASMSTART
	v_cvt_off_f32_i4 v81, v26
	;;#ASMEND
	;;#ASMSTART
	v_cvt_off_f32_i4 v82, v27
	;;#ASMEND
	;;#ASMSTART
	v_cvt_off_f32_i4 v83, v20
	;;#ASMEND
	;;#ASMSTART
	v_cvt_off_f32_i4 v84, v21
	;;#ASMEND
	;;#ASMSTART
	v_cvt_off_f32_i4 v85, v28
	;;#ASMEND
	;;#ASMSTART
	v_cvt_off_f32_i4 v86, v29
	;;#ASMEND
	;;#ASMSTART
	v_cvt_off_f32_i4 v87, v30
	;;#ASMEND
	;;#ASMSTART
	v_cvt_off_f32_i4 v96, v31
	;;#ASMEND
	;;#ASMSTART
	v_cvt_off_f32_i4 v32, v32
	;;#ASMEND
	;;#ASMSTART
	v_cvt_off_f32_i4 v33, v33
	;;#ASMEND
	;;#ASMSTART
	v_cvt_off_f32_i4 v34, v34
	;;#ASMEND
	;;#ASMSTART
	v_cvt_off_f32_i4 v97, v22
	;;#ASMEND
	;;#ASMSTART
	v_cvt_off_f32_i4 v35, v35
	;;#ASMEND
	;;#ASMSTART
	v_cvt_off_f32_i4 v36, v36
	;;#ASMEND
	;;#ASMSTART
	v_cvt_off_f32_i4 v37, v37
	;;#ASMEND
	;;#ASMSTART
	v_cvt_off_f32_i4 v38, v38
	;;#ASMEND
	;;#ASMSTART
	v_cvt_off_f32_i4 v39, v39
	;;#ASMEND
	;;#ASMSTART
	v_cvt_off_f32_i4 v48, v48
	;;#ASMEND
	;;#ASMSTART
	v_cvt_off_f32_i4 v49, v49
	;;#ASMEND
	;;#ASMSTART
	v_cvt_off_f32_i4 v98, v23
	;;#ASMEND
	;;#ASMSTART
	v_cvt_off_f32_i4 v50, v50
	;;#ASMEND
	;;#ASMSTART
	v_cvt_off_f32_i4 v51, v51
	;;#ASMEND
	;;#ASMSTART
	v_cvt_off_f32_i4 v66, v66
	;;#ASMEND
	;;#ASMSTART
	v_cvt_off_f32_i4 v67, v67
	;;#ASMEND
	;;#ASMSTART
	v_cvt_off_f32_i4 v68, v68
	;;#ASMEND
	;;#ASMSTART
	v_cvt_off_f32_i4 v69, v69
	;;#ASMEND
	;;#ASMSTART
	v_cvt_off_f32_i4 v70, v70
	;;#ASMEND
	scratch_load_b128 v[20:23], off, s33 offset:192
	v_dual_mov_b32 v24, 0 :: v_dual_mov_b32 v25, 0
	v_dual_mov_b32 v26, 0 :: v_dual_mov_b32 v27, 0
	v_dual_mov_b32 v28, 0 :: v_dual_mov_b32 v29, 0
	v_dual_mov_b32 v30, 0 :: v_dual_mov_b32 v31, 0
	s_delay_alu instid0(VALU_DEP_4)
	v_cvt_pk_fp8_f32 v24, v0, v1
	v_cvt_pk_fp8_f32 v25, v2, v71
	;; [unrolled: 1-line block ×8, first 2 shown]
	v_cvt_pk_fp8_f32 v24, v80, v81 op_sel:[0,0,1]
	v_cvt_pk_fp8_f32 v25, v82, v83 op_sel:[0,0,1]
	;; [unrolled: 1-line block ×8, first 2 shown]
	s_clause 0x1
	scratch_store_b128 off, v[24:27], s33 offset:640
	scratch_store_b128 off, v[28:31], s33 offset:656
	s_wait_loadcnt 0x0
	;;#ASMSTART
	v_cvt_off_f32_i4 v0, v20
	;;#ASMEND
	v_ashrrev_i32_e32 v1, 16, v20
	v_ashrrev_i32_e32 v2, 8, v20
	;; [unrolled: 1-line block ×28, first 2 shown]
	;;#ASMSTART
	v_cvt_off_f32_i4 v1, v1
	;;#ASMEND
	;;#ASMSTART
	v_cvt_off_f32_i4 v2, v2
	;;#ASMEND
	;; [unrolled: 3-line block ×31, first 2 shown]
	scratch_load_b128 v[20:23], off, s33 offset:224
	v_dual_mov_b32 v24, 0 :: v_dual_mov_b32 v25, 0
	v_dual_mov_b32 v26, 0 :: v_dual_mov_b32 v27, 0
	;; [unrolled: 1-line block ×4, first 2 shown]
	s_delay_alu instid0(VALU_DEP_4)
	v_cvt_pk_fp8_f32 v24, v0, v1
	v_cvt_pk_fp8_f32 v25, v2, v71
	;; [unrolled: 1-line block ×8, first 2 shown]
	v_cvt_pk_fp8_f32 v24, v80, v81 op_sel:[0,0,1]
	v_cvt_pk_fp8_f32 v25, v82, v83 op_sel:[0,0,1]
	;; [unrolled: 1-line block ×8, first 2 shown]
	s_clause 0x1
	scratch_store_b128 off, v[24:27], s33 offset:704
	scratch_store_b128 off, v[28:31], s33 offset:720
	s_wait_loadcnt 0x0
	;;#ASMSTART
	v_cvt_off_f32_i4 v0, v20
	;;#ASMEND
	v_ashrrev_i32_e32 v1, 16, v20
	v_ashrrev_i32_e32 v2, 8, v20
	;; [unrolled: 1-line block ×28, first 2 shown]
	;;#ASMSTART
	v_cvt_off_f32_i4 v1, v1
	;;#ASMEND
	;;#ASMSTART
	v_cvt_off_f32_i4 v2, v2
	;;#ASMEND
	;; [unrolled: 3-line block ×31, first 2 shown]
	scratch_load_b128 v[20:23], off, s33 offset:160
	v_dual_mov_b32 v24, 0 :: v_dual_mov_b32 v25, 0
	v_dual_mov_b32 v26, 0 :: v_dual_mov_b32 v27, 0
	;; [unrolled: 1-line block ×4, first 2 shown]
	s_delay_alu instid0(VALU_DEP_4)
	v_cvt_pk_fp8_f32 v24, v0, v1
	v_cvt_pk_fp8_f32 v25, v2, v71
	;; [unrolled: 1-line block ×8, first 2 shown]
	v_cvt_pk_fp8_f32 v24, v80, v81 op_sel:[0,0,1]
	v_cvt_pk_fp8_f32 v25, v82, v83 op_sel:[0,0,1]
	v_cvt_pk_fp8_f32 v26, v96, v32 op_sel:[0,0,1]
	v_cvt_pk_fp8_f32 v27, v33, v34 op_sel:[0,0,1]
	v_cvt_pk_fp8_f32 v28, v38, v39 op_sel:[0,0,1]
	v_cvt_pk_fp8_f32 v29, v48, v49 op_sel:[0,0,1]
	v_cvt_pk_fp8_f32 v30, v67, v68 op_sel:[0,0,1]
	v_cvt_pk_fp8_f32 v31, v69, v70 op_sel:[0,0,1]
	s_clause 0x1
	scratch_store_b128 off, v[24:27], s33 offset:736
	scratch_store_b128 off, v[28:31], s33 offset:752
	s_wait_loadcnt 0x0
	;;#ASMSTART
	v_cvt_off_f32_i4 v0, v20
	;;#ASMEND
	v_ashrrev_i32_e32 v1, 16, v20
	v_ashrrev_i32_e32 v2, 8, v20
	;; [unrolled: 1-line block ×28, first 2 shown]
	;;#ASMSTART
	v_cvt_off_f32_i4 v1, v1
	;;#ASMEND
	;;#ASMSTART
	v_cvt_off_f32_i4 v2, v2
	;;#ASMEND
	;; [unrolled: 3-line block ×31, first 2 shown]
	scratch_load_b128 v[20:23], off, s33 offset:96
	v_dual_mov_b32 v24, 0 :: v_dual_mov_b32 v25, 0
	v_dual_mov_b32 v26, 0 :: v_dual_mov_b32 v27, 0
	;; [unrolled: 1-line block ×4, first 2 shown]
	s_delay_alu instid0(VALU_DEP_4)
	v_cvt_pk_fp8_f32 v24, v0, v1
	v_cvt_pk_fp8_f32 v25, v2, v71
	v_cvt_pk_fp8_f32 v26, v84, v85
	v_cvt_pk_fp8_f32 v27, v86, v87
	v_cvt_pk_fp8_f32 v28, v97, v35
	v_cvt_pk_fp8_f32 v29, v36, v37
	v_cvt_pk_fp8_f32 v30, v98, v50
	v_cvt_pk_fp8_f32 v31, v51, v66
	v_cvt_pk_fp8_f32 v24, v80, v81 op_sel:[0,0,1]
	v_cvt_pk_fp8_f32 v25, v82, v83 op_sel:[0,0,1]
	v_cvt_pk_fp8_f32 v26, v96, v32 op_sel:[0,0,1]
	v_cvt_pk_fp8_f32 v27, v33, v34 op_sel:[0,0,1]
	v_cvt_pk_fp8_f32 v28, v38, v39 op_sel:[0,0,1]
	v_cvt_pk_fp8_f32 v29, v48, v49 op_sel:[0,0,1]
	v_cvt_pk_fp8_f32 v30, v67, v68 op_sel:[0,0,1]
	v_cvt_pk_fp8_f32 v31, v69, v70 op_sel:[0,0,1]
	s_clause 0x1
	scratch_store_b128 off, v[24:27], s33 offset:672
	scratch_store_b128 off, v[28:31], s33 offset:688
	s_wait_loadcnt 0x0
	;;#ASMSTART
	v_cvt_off_f32_i4 v0, v20
	;;#ASMEND
	v_ashrrev_i32_e32 v1, 16, v20
	v_ashrrev_i32_e32 v2, 8, v20
	v_ashrrev_i32_e32 v24, 24, v20
	v_ashrrev_i32_e32 v25, 4, v20
	v_ashrrev_i32_e32 v26, 20, v20
	v_ashrrev_i32_e32 v27, 12, v20
	v_ashrrev_i32_e32 v20, 28, v20
	v_ashrrev_i32_e32 v37, 24, v22
	v_ashrrev_i32_e32 v38, 4, v22
	v_ashrrev_i32_e32 v39, 20, v22
	v_ashrrev_i32_e32 v48, 12, v22
	v_ashrrev_i32_e32 v49, 28, v22
	v_ashrrev_i32_e32 v50, 16, v23
	v_ashrrev_i32_e32 v51, 8, v23
	v_ashrrev_i32_e32 v66, 24, v23
	v_ashrrev_i32_e32 v67, 4, v23
	v_ashrrev_i32_e32 v68, 20, v23
	v_ashrrev_i32_e32 v69, 12, v23
	v_ashrrev_i32_e32 v70, 28, v23
	v_ashrrev_i32_e32 v28, 16, v21
	v_ashrrev_i32_e32 v29, 8, v21
	v_ashrrev_i32_e32 v30, 24, v21
	v_ashrrev_i32_e32 v31, 4, v21
	v_ashrrev_i32_e32 v32, 20, v21
	v_ashrrev_i32_e32 v33, 12, v21
	v_ashrrev_i32_e32 v34, 28, v21
	v_ashrrev_i32_e32 v35, 16, v22
	v_ashrrev_i32_e32 v36, 8, v22
	;;#ASMSTART
	v_cvt_off_f32_i4 v1, v1
	;;#ASMEND
	;;#ASMSTART
	v_cvt_off_f32_i4 v2, v2
	;;#ASMEND
	;; [unrolled: 3-line block ×31, first 2 shown]
	scratch_load_b128 v[20:23], off, s33 offset:32
	v_dual_mov_b32 v24, 0 :: v_dual_mov_b32 v25, 0
	v_dual_mov_b32 v26, 0 :: v_dual_mov_b32 v27, 0
	;; [unrolled: 1-line block ×4, first 2 shown]
	s_delay_alu instid0(VALU_DEP_4)
	v_cvt_pk_fp8_f32 v24, v0, v1
	v_cvt_pk_fp8_f32 v25, v2, v71
	;; [unrolled: 1-line block ×8, first 2 shown]
	v_cvt_pk_fp8_f32 v24, v80, v81 op_sel:[0,0,1]
	v_cvt_pk_fp8_f32 v25, v82, v83 op_sel:[0,0,1]
	;; [unrolled: 1-line block ×8, first 2 shown]
	v_dual_mov_b32 v32, 0 :: v_dual_mov_b32 v33, 0
	v_dual_mov_b32 v34, 0 :: v_dual_mov_b32 v35, 0
	;; [unrolled: 1-line block ×4, first 2 shown]
	s_clause 0x1
	scratch_store_b128 off, v[24:27], s33 offset:608
	scratch_store_b128 off, v[28:31], s33 offset:624
	s_wait_loadcnt 0x0
	;;#ASMSTART
	v_cvt_off_f32_i4 v0, v20
	;;#ASMEND
	v_ashrrev_i32_e32 v1, 16, v20
	v_ashrrev_i32_e32 v2, 8, v20
	;; [unrolled: 1-line block ×28, first 2 shown]
	;;#ASMSTART
	v_cvt_off_f32_i4 v1, v1
	;;#ASMEND
	;;#ASMSTART
	v_cvt_off_f32_i4 v2, v2
	;;#ASMEND
	;; [unrolled: 3-line block ×27, first 2 shown]
	v_cvt_pk_fp8_f32 v32, v0, v1
	v_cvt_pk_fp8_f32 v33, v2, v24
	;; [unrolled: 1-line block ×8, first 2 shown]
	;;#ASMSTART
	v_cvt_off_f32_i4 v83, v83
	;;#ASMEND
	;;#ASMSTART
	v_cvt_off_f32_i4 v84, v84
	;;#ASMEND
	;; [unrolled: 3-line block ×4, first 2 shown]
	v_cvt_pk_fp8_f32 v32, v25, v26 op_sel:[0,0,1]
	v_cvt_pk_fp8_f32 v33, v27, v20 op_sel:[0,0,1]
	;; [unrolled: 1-line block ×8, first 2 shown]
	s_clause 0x1
	scratch_store_b128 off, v[32:35], s33 offset:544
	scratch_store_b128 off, v[36:39], s33 offset:560
	; sched_barrier mask(0x00000000)
	scratch_load_b128 v[36:39], off, s33 offset:512
	s_clause 0x1
	flat_load_b128 v[24:27], v[52:53] offset:656
	flat_load_b128 v[20:23], v[52:53] offset:640
	scratch_load_b128 v[48:51], off, s33 offset:576
	s_clause 0x1
	flat_load_b128 v[32:35], v[52:53] offset:688
	flat_load_b128 v[28:31], v[52:53] offset:672
	s_clause 0x2
	scratch_load_b128 v[66:69], off, s33 offset:528
	scratch_load_b128 v[112:115], off, s33 offset:592
	;; [unrolled: 1-line block ×3, first 2 shown]
	s_clause 0x1
	flat_load_b128 v[84:87], v[52:53] offset:720
	flat_load_b128 v[80:83], v[52:53] offset:704
	scratch_load_b128 v[128:131], off, s33 offset:704
	s_clause 0x1
	flat_load_b128 v[100:103], v[52:53] offset:752
	flat_load_b128 v[96:99], v[52:53] offset:736
	s_clause 0x2
	scratch_load_b128 v[132:135], off, s33 offset:656
	scratch_load_b128 v[144:147], off, s33 offset:720
	;; [unrolled: 1-line block ×3, first 2 shown]
	s_wait_loadcnt_dscnt 0xe06
	v_wmma_f32_16x16x16_fp8_fp8 v[20:27], v[16:17], v[36:37], v[20:27]
	s_wait_loadcnt_dscnt 0xb04
	v_wmma_f32_16x16x16_fp8_fp8 v[28:35], v[16:17], v[48:49], v[28:35]
	s_delay_alu instid0(VALU_DEP_2)
	v_wmma_f32_16x16x16_fp8_fp8 v[20:27], v[18:19], v[38:39], v[20:27]
	scratch_load_b128 v[36:39], off, s33 offset:608
	v_wmma_f32_16x16x16_fp8_fp8 v[28:35], v[18:19], v[50:51], v[28:35]
	scratch_load_b128 v[48:51], off, s33 offset:560
	s_wait_loadcnt 0xc
	v_wmma_f32_16x16x16_fp8_fp8 v[20:27], v[12:13], v[66:67], v[20:27]
	s_wait_loadcnt 0xb
	v_wmma_f32_16x16x16_fp8_fp8 v[28:35], v[12:13], v[112:113], v[28:35]
	s_delay_alu instid0(VALU_DEP_2)
	v_wmma_f32_16x16x16_fp8_fp8 v[20:27], v[14:15], v[68:69], v[20:27]
	scratch_load_b128 v[66:69], off, s33 offset:624
	v_wmma_f32_16x16x16_fp8_fp8 v[28:35], v[14:15], v[114:115], v[28:35]
	s_wait_loadcnt_dscnt 0x902
	v_wmma_f32_16x16x16_fp8_fp8 v[80:87], v[16:17], v[116:117], v[80:87]
	scratch_load_b128 v[112:115], off, s33 offset:672
	s_wait_loadcnt_dscnt 0x700
	v_wmma_f32_16x16x16_fp8_fp8 v[96:103], v[16:17], v[128:129], v[96:103]
	; sched_group_barrier mask(0x00000008) size(8) SyncID(0)
	; sched_group_barrier mask(0x00000100) size(1) SyncID(0)
	v_wmma_f32_16x16x16_fp8_fp8 v[80:87], v[18:19], v[118:119], v[80:87]
	scratch_load_b128 v[116:119], off, s33 offset:736
	v_wmma_f32_16x16x16_fp8_fp8 v[96:103], v[18:19], v[130:131], v[96:103]
	s_clause 0x1
	scratch_load_b128 v[16:19], off, s33 offset:688
	scratch_load_b128 v[128:131], off, s33 offset:752
	s_wait_loadcnt 0x9
	v_wmma_f32_16x16x16_fp8_fp8 v[80:87], v[12:13], v[132:133], v[80:87]
	s_wait_loadcnt 0x8
	v_wmma_f32_16x16x16_fp8_fp8 v[96:103], v[12:13], v[144:145], v[96:103]
	s_delay_alu instid0(VALU_DEP_2) | instskip(NEXT) | instid1(VALU_DEP_2)
	v_wmma_f32_16x16x16_fp8_fp8 v[80:87], v[14:15], v[134:135], v[80:87]
	v_wmma_f32_16x16x16_fp8_fp8 v[96:103], v[14:15], v[146:147], v[96:103]
	s_wait_loadcnt 0x7
	v_wmma_f32_16x16x16_fp8_fp8 v[20:27], v[8:9], v[148:149], v[20:27]
	; sched_group_barrier mask(0x00000008) size(8) SyncID(0)
	; sched_group_barrier mask(0x00000100) size(1) SyncID(0)
	s_delay_alu instid0(VALU_DEP_1) | instskip(SKIP_3) | instid1(VALU_DEP_2)
	v_wmma_f32_16x16x16_fp8_fp8 v[20:27], v[10:11], v[150:151], v[20:27]
	s_wait_loadcnt 0x6
	v_wmma_f32_16x16x16_fp8_fp8 v[28:35], v[8:9], v[36:37], v[28:35]
	s_wait_loadcnt 0x5
	v_wmma_f32_16x16x16_fp8_fp8 v[20:27], v[4:5], v[48:49], v[20:27]
	s_delay_alu instid0(VALU_DEP_2)
	v_wmma_f32_16x16x16_fp8_fp8 v[28:35], v[10:11], v[38:39], v[28:35]
	scratch_load_b128 v[36:39], off, s33
	v_wmma_f32_16x16x16_fp8_fp8 v[20:27], v[6:7], v[50:51], v[20:27]
	s_wait_loadcnt 0x5
	v_wmma_f32_16x16x16_fp8_fp8 v[28:35], v[4:5], v[66:67], v[28:35]
	s_clause 0x1
	flat_store_b128 v[52:53], v[20:23] offset:640
	flat_store_b128 v[52:53], v[24:27] offset:656
	v_wmma_f32_16x16x16_fp8_fp8 v[28:35], v[6:7], v[68:69], v[28:35]
	s_wait_loadcnt 0x4
	v_wmma_f32_16x16x16_fp8_fp8 v[80:87], v[8:9], v[112:113], v[80:87]
	; sched_group_barrier mask(0x00000008) size(8) SyncID(0)
	; sched_group_barrier mask(0x00000100) size(1) SyncID(0)
	s_wait_loadcnt 0x3
	v_wmma_f32_16x16x16_fp8_fp8 v[96:103], v[8:9], v[116:117], v[96:103]
	flat_store_b128 v[52:53], v[28:31] offset:672
	v_wmma_f32_16x16x16_fp8_fp8 v[80:87], v[10:11], v[114:115], v[80:87]
	flat_store_b128 v[52:53], v[32:35] offset:688
	v_wmma_f32_16x16x16_fp8_fp8 v[96:103], v[10:11], v[118:119], v[96:103]
	s_wait_loadcnt 0x2
	v_wmma_f32_16x16x16_fp8_fp8 v[80:87], v[4:5], v[16:17], v[80:87]
	s_wait_loadcnt 0x1
	s_delay_alu instid0(VALU_DEP_2) | instskip(NEXT) | instid1(VALU_DEP_2)
	v_wmma_f32_16x16x16_fp8_fp8 v[96:103], v[4:5], v[128:129], v[96:103]
	v_wmma_f32_16x16x16_fp8_fp8 v[80:87], v[6:7], v[18:19], v[80:87]
	s_delay_alu instid0(VALU_DEP_2)
	v_wmma_f32_16x16x16_fp8_fp8 v[96:103], v[6:7], v[130:131], v[96:103]
	; sched_group_barrier mask(0x00000008) size(8) SyncID(0)
	; sched_group_barrier mask(0x00000100) size(1) SyncID(0)
	s_clause 0x3
	flat_store_b128 v[52:53], v[84:87] offset:720
	flat_store_b128 v[52:53], v[80:83] offset:704
	;; [unrolled: 1-line block ×4, first 2 shown]
	s_clause 0x3
	flat_load_b64 v[8:9], v[64:65] offset:1148
	flat_load_b64 v[10:11], v[64:65] offset:1164
	flat_load_b128 v[4:7], v[64:65] offset:1176
	flat_load_b96 v[0:2], v[64:65] offset:1132
	flat_load_b64 v[12:13], v[54:55]
	s_wait_loadcnt 0x5
	v_ashrrev_i32_e32 v22, 16, v36
	v_ashrrev_i32_e32 v23, 8, v36
	;; [unrolled: 1-line block ×27, first 2 shown]
	s_wait_loadcnt_dscnt 0x303
	v_sub_nc_u32_e32 v8, v8, v11
	s_wait_loadcnt_dscnt 0x202
	v_add_nc_u32_e32 v14, 16, v7
	v_add_nc_u32_e32 v4, v10, v4
	v_sub_nc_u32_e32 v11, v9, v10
	s_wait_loadcnt_dscnt 0x101
	v_sub_nc_u32_e32 v6, v0, v6
	v_add3_u32 v5, v8, v5, 0xc0
	v_add_nc_u32_e32 v8, 64, v7
	v_add_nc_u32_e32 v7, 0x50, v7
	v_ashrrev_i32_e32 v10, 31, v14
	v_sub_nc_u32_e32 v4, v9, v4
	v_ashrrev_i32_e32 v9, 31, v5
	v_ashrrev_i32_e32 v15, 31, v8
	;; [unrolled: 1-line block ×3, first 2 shown]
	v_lshrrev_b32_e32 v10, 28, v10
	v_sub_nc_u32_e32 v2, v5, v2
	v_lshrrev_b32_e32 v9, 29, v9
	v_lshrrev_b32_e32 v15, 28, v15
	;; [unrolled: 1-line block ×3, first 2 shown]
	v_add_nc_u32_e32 v10, v14, v10
	v_lshlrev_b32_e32 v2, 7, v2
	v_add_nc_u32_e32 v9, v5, v9
	v_add_nc_u32_e32 v15, v8, v15
	;; [unrolled: 1-line block ×3, first 2 shown]
	v_lshrrev_b32_e32 v17, 4, v10
	v_and_b32_e32 v10, -16, v10
	v_and_b32_e32 v9, -8, v9
	v_lshrrev_b32_e32 v18, 4, v15
	v_lshrrev_b32_e32 v19, 4, v16
	v_and_b32_e32 v15, -16, v15
	v_sub_nc_u32_e32 v10, v14, v10
	v_sub_nc_u32_e32 v5, v5, v9
	v_and_b32_e32 v9, -16, v16
	v_add_nc_u32_e32 v16, v17, v4
	v_add_nc_u32_e32 v17, v18, v4
	;; [unrolled: 1-line block ×3, first 2 shown]
	v_xor_b32_e32 v11, v5, v11
	v_add_nc_u32_e32 v6, v6, v2
	v_xor_b32_e32 v14, v16, v5
	v_xor_b32_e32 v16, v17, v5
	;; [unrolled: 1-line block ×3, first 2 shown]
	v_sub_nc_u32_e32 v5, v11, v1
	v_sub_nc_u32_e32 v8, v8, v15
	;; [unrolled: 1-line block ×5, first 2 shown]
	v_lshlrev_b32_e32 v4, 4, v5
	v_sub_nc_u32_e32 v5, v7, v9
	v_lshlrev_b32_e32 v7, 4, v11
	v_lshlrev_b32_e32 v9, 4, v14
	;; [unrolled: 1-line block ×3, first 2 shown]
	v_add3_u32 v0, v2, v0, v4
	v_ashrrev_i32_e32 v2, 12, v39
	v_add3_u32 v4, v10, v6, v7
	v_add3_u32 v7, v8, v6, v9
	;; [unrolled: 1-line block ×3, first 2 shown]
	v_ashrrev_i32_e32 v5, 31, v0
	s_wait_loadcnt_dscnt 0x0
	v_add_co_u32 v0, vcc_lo, v12, v0
	v_ashrrev_i32_e32 v8, 31, v4
	v_ashrrev_i32_e32 v9, 31, v7
	;; [unrolled: 1-line block ×3, first 2 shown]
	v_add_co_u32 v4, s0, v12, v4
	v_add_co_u32 v6, s1, v12, v7
	;; [unrolled: 1-line block ×3, first 2 shown]
	s_wait_alu 0xfffd
	v_add_co_ci_u32_e64 v1, null, v13, v5, vcc_lo
	s_wait_alu 0xf1ff
	v_add_co_ci_u32_e64 v5, null, v13, v8, s0
	v_add_co_ci_u32_e64 v7, null, v13, v9, s1
	;; [unrolled: 1-line block ×3, first 2 shown]
	s_clause 0x3
	flat_load_b128 v[16:19], v[0:1]
	flat_load_b128 v[12:15], v[4:5]
	;; [unrolled: 1-line block ×4, first 2 shown]
	;;#ASMSTART
	v_cvt_off_f32_i4 v0, v36
	;;#ASMEND
	;;#ASMSTART
	v_cvt_off_f32_i4 v1, v22
	;;#ASMEND
	;; [unrolled: 3-line block ×32, first 2 shown]
	scratch_load_b128 v[20:23], off, s33 offset:64
	v_dual_mov_b32 v24, 0 :: v_dual_mov_b32 v25, 0
	v_dual_mov_b32 v26, 0 :: v_dual_mov_b32 v27, 0
	;; [unrolled: 1-line block ×4, first 2 shown]
	s_delay_alu instid0(VALU_DEP_4)
	v_cvt_pk_fp8_f32 v24, v0, v1
	v_cvt_pk_fp8_f32 v25, v36, v83
	;; [unrolled: 1-line block ×8, first 2 shown]
	v_cvt_pk_fp8_f32 v24, v84, v85 op_sel:[0,0,1]
	v_cvt_pk_fp8_f32 v25, v86, v87 op_sel:[0,0,1]
	;; [unrolled: 1-line block ×8, first 2 shown]
	s_clause 0x1
	scratch_store_b128 off, v[24:27], s33 offset:512
	scratch_store_b128 off, v[28:31], s33 offset:528
	s_wait_loadcnt 0x0
	;;#ASMSTART
	v_cvt_off_f32_i4 v0, v20
	;;#ASMEND
	v_ashrrev_i32_e32 v1, 16, v20
	v_ashrrev_i32_e32 v2, 8, v20
	v_ashrrev_i32_e32 v24, 24, v20
	v_ashrrev_i32_e32 v25, 4, v20
	v_ashrrev_i32_e32 v26, 20, v20
	v_ashrrev_i32_e32 v27, 12, v20
	v_ashrrev_i32_e32 v20, 28, v20
	v_ashrrev_i32_e32 v32, 20, v21
	v_ashrrev_i32_e32 v33, 12, v21
	v_ashrrev_i32_e32 v34, 28, v21
	v_ashrrev_i32_e32 v35, 16, v22
	v_ashrrev_i32_e32 v36, 8, v22
	v_ashrrev_i32_e32 v37, 24, v22
	v_ashrrev_i32_e32 v38, 4, v22
	v_ashrrev_i32_e32 v39, 20, v22
	v_ashrrev_i32_e32 v48, 12, v22
	v_ashrrev_i32_e32 v49, 28, v22
	v_ashrrev_i32_e32 v50, 16, v23
	v_ashrrev_i32_e32 v51, 8, v23
	v_ashrrev_i32_e32 v66, 24, v23
	v_ashrrev_i32_e32 v67, 4, v23
	v_ashrrev_i32_e32 v68, 20, v23
	v_ashrrev_i32_e32 v69, 12, v23
	v_ashrrev_i32_e32 v70, 28, v23
	v_ashrrev_i32_e32 v28, 16, v21
	v_ashrrev_i32_e32 v29, 8, v21
	v_ashrrev_i32_e32 v30, 24, v21
	v_ashrrev_i32_e32 v31, 4, v21
	;;#ASMSTART
	v_cvt_off_f32_i4 v1, v1
	;;#ASMEND
	;;#ASMSTART
	v_cvt_off_f32_i4 v2, v2
	;;#ASMEND
	;; [unrolled: 3-line block ×31, first 2 shown]
	scratch_load_b128 v[20:23], off, s33 offset:128
	v_dual_mov_b32 v24, 0 :: v_dual_mov_b32 v25, 0
	v_dual_mov_b32 v26, 0 :: v_dual_mov_b32 v27, 0
	;; [unrolled: 1-line block ×4, first 2 shown]
	s_delay_alu instid0(VALU_DEP_4)
	v_cvt_pk_fp8_f32 v24, v0, v1
	v_cvt_pk_fp8_f32 v25, v2, v71
	v_cvt_pk_fp8_f32 v26, v84, v85
	v_cvt_pk_fp8_f32 v27, v86, v87
	v_cvt_pk_fp8_f32 v28, v97, v35
	v_cvt_pk_fp8_f32 v29, v36, v37
	v_cvt_pk_fp8_f32 v30, v98, v50
	v_cvt_pk_fp8_f32 v31, v51, v66
	v_cvt_pk_fp8_f32 v24, v80, v81 op_sel:[0,0,1]
	v_cvt_pk_fp8_f32 v25, v82, v83 op_sel:[0,0,1]
	;; [unrolled: 1-line block ×8, first 2 shown]
	s_clause 0x1
	scratch_store_b128 off, v[24:27], s33 offset:576
	scratch_store_b128 off, v[28:31], s33 offset:592
	s_wait_loadcnt 0x0
	;;#ASMSTART
	v_cvt_off_f32_i4 v0, v20
	;;#ASMEND
	v_ashrrev_i32_e32 v1, 16, v20
	v_ashrrev_i32_e32 v2, 8, v20
	;; [unrolled: 1-line block ×28, first 2 shown]
	;;#ASMSTART
	v_cvt_off_f32_i4 v1, v1
	;;#ASMEND
	;;#ASMSTART
	v_cvt_off_f32_i4 v2, v2
	;;#ASMEND
	;; [unrolled: 3-line block ×31, first 2 shown]
	scratch_load_b128 v[20:23], off, s33 offset:192
	v_dual_mov_b32 v24, 0 :: v_dual_mov_b32 v25, 0
	v_dual_mov_b32 v26, 0 :: v_dual_mov_b32 v27, 0
	;; [unrolled: 1-line block ×4, first 2 shown]
	s_delay_alu instid0(VALU_DEP_4)
	v_cvt_pk_fp8_f32 v24, v0, v1
	v_cvt_pk_fp8_f32 v25, v2, v71
	v_cvt_pk_fp8_f32 v26, v84, v85
	v_cvt_pk_fp8_f32 v27, v86, v87
	v_cvt_pk_fp8_f32 v28, v97, v35
	v_cvt_pk_fp8_f32 v29, v36, v37
	v_cvt_pk_fp8_f32 v30, v98, v50
	v_cvt_pk_fp8_f32 v31, v51, v66
	v_cvt_pk_fp8_f32 v24, v80, v81 op_sel:[0,0,1]
	v_cvt_pk_fp8_f32 v25, v82, v83 op_sel:[0,0,1]
	;; [unrolled: 1-line block ×8, first 2 shown]
	s_clause 0x1
	scratch_store_b128 off, v[24:27], s33 offset:640
	scratch_store_b128 off, v[28:31], s33 offset:656
	s_wait_loadcnt 0x0
	;;#ASMSTART
	v_cvt_off_f32_i4 v0, v20
	;;#ASMEND
	v_ashrrev_i32_e32 v1, 16, v20
	v_ashrrev_i32_e32 v2, 8, v20
	;; [unrolled: 1-line block ×28, first 2 shown]
	;;#ASMSTART
	v_cvt_off_f32_i4 v1, v1
	;;#ASMEND
	;;#ASMSTART
	v_cvt_off_f32_i4 v2, v2
	;;#ASMEND
	;; [unrolled: 3-line block ×31, first 2 shown]
	scratch_load_b128 v[20:23], off, s33 offset:224
	v_dual_mov_b32 v24, 0 :: v_dual_mov_b32 v25, 0
	v_dual_mov_b32 v26, 0 :: v_dual_mov_b32 v27, 0
	;; [unrolled: 1-line block ×4, first 2 shown]
	s_delay_alu instid0(VALU_DEP_4)
	v_cvt_pk_fp8_f32 v24, v0, v1
	v_cvt_pk_fp8_f32 v25, v2, v71
	;; [unrolled: 1-line block ×8, first 2 shown]
	v_cvt_pk_fp8_f32 v24, v80, v81 op_sel:[0,0,1]
	v_cvt_pk_fp8_f32 v25, v82, v83 op_sel:[0,0,1]
	;; [unrolled: 1-line block ×8, first 2 shown]
	s_clause 0x1
	scratch_store_b128 off, v[24:27], s33 offset:704
	scratch_store_b128 off, v[28:31], s33 offset:720
	s_wait_loadcnt 0x0
	;;#ASMSTART
	v_cvt_off_f32_i4 v0, v20
	;;#ASMEND
	v_ashrrev_i32_e32 v1, 16, v20
	v_ashrrev_i32_e32 v2, 8, v20
	;; [unrolled: 1-line block ×28, first 2 shown]
	;;#ASMSTART
	v_cvt_off_f32_i4 v1, v1
	;;#ASMEND
	;;#ASMSTART
	v_cvt_off_f32_i4 v2, v2
	;;#ASMEND
	;; [unrolled: 3-line block ×31, first 2 shown]
	scratch_load_b128 v[20:23], off, s33 offset:160
	v_dual_mov_b32 v24, 0 :: v_dual_mov_b32 v25, 0
	v_dual_mov_b32 v26, 0 :: v_dual_mov_b32 v27, 0
	;; [unrolled: 1-line block ×4, first 2 shown]
	s_delay_alu instid0(VALU_DEP_4)
	v_cvt_pk_fp8_f32 v24, v0, v1
	v_cvt_pk_fp8_f32 v25, v2, v71
	;; [unrolled: 1-line block ×8, first 2 shown]
	v_cvt_pk_fp8_f32 v24, v80, v81 op_sel:[0,0,1]
	v_cvt_pk_fp8_f32 v25, v82, v83 op_sel:[0,0,1]
	;; [unrolled: 1-line block ×8, first 2 shown]
	s_clause 0x1
	scratch_store_b128 off, v[24:27], s33 offset:736
	scratch_store_b128 off, v[28:31], s33 offset:752
	s_wait_loadcnt 0x0
	;;#ASMSTART
	v_cvt_off_f32_i4 v0, v20
	;;#ASMEND
	v_ashrrev_i32_e32 v1, 16, v20
	v_ashrrev_i32_e32 v2, 8, v20
	;; [unrolled: 1-line block ×28, first 2 shown]
	;;#ASMSTART
	v_cvt_off_f32_i4 v1, v1
	;;#ASMEND
	;;#ASMSTART
	v_cvt_off_f32_i4 v2, v2
	;;#ASMEND
	;; [unrolled: 3-line block ×31, first 2 shown]
	scratch_load_b128 v[20:23], off, s33 offset:96
	v_dual_mov_b32 v24, 0 :: v_dual_mov_b32 v25, 0
	v_dual_mov_b32 v26, 0 :: v_dual_mov_b32 v27, 0
	;; [unrolled: 1-line block ×4, first 2 shown]
	s_delay_alu instid0(VALU_DEP_4)
	v_cvt_pk_fp8_f32 v24, v0, v1
	v_cvt_pk_fp8_f32 v25, v2, v71
	;; [unrolled: 1-line block ×8, first 2 shown]
	v_cvt_pk_fp8_f32 v24, v80, v81 op_sel:[0,0,1]
	v_cvt_pk_fp8_f32 v25, v82, v83 op_sel:[0,0,1]
	;; [unrolled: 1-line block ×8, first 2 shown]
	s_clause 0x1
	scratch_store_b128 off, v[24:27], s33 offset:672
	scratch_store_b128 off, v[28:31], s33 offset:688
	s_wait_loadcnt 0x0
	;;#ASMSTART
	v_cvt_off_f32_i4 v0, v20
	;;#ASMEND
	v_ashrrev_i32_e32 v1, 16, v20
	v_ashrrev_i32_e32 v2, 8, v20
	;; [unrolled: 1-line block ×28, first 2 shown]
	;;#ASMSTART
	v_cvt_off_f32_i4 v1, v1
	;;#ASMEND
	;;#ASMSTART
	v_cvt_off_f32_i4 v2, v2
	;;#ASMEND
	;; [unrolled: 3-line block ×31, first 2 shown]
	scratch_load_b128 v[20:23], off, s33 offset:32
	v_dual_mov_b32 v24, 0 :: v_dual_mov_b32 v25, 0
	v_dual_mov_b32 v26, 0 :: v_dual_mov_b32 v27, 0
	;; [unrolled: 1-line block ×4, first 2 shown]
	s_delay_alu instid0(VALU_DEP_4)
	v_cvt_pk_fp8_f32 v24, v0, v1
	v_cvt_pk_fp8_f32 v25, v2, v71
	;; [unrolled: 1-line block ×8, first 2 shown]
	v_cvt_pk_fp8_f32 v24, v80, v81 op_sel:[0,0,1]
	v_cvt_pk_fp8_f32 v25, v82, v83 op_sel:[0,0,1]
	;; [unrolled: 1-line block ×8, first 2 shown]
	v_dual_mov_b32 v32, 0 :: v_dual_mov_b32 v33, 0
	v_dual_mov_b32 v34, 0 :: v_dual_mov_b32 v35, 0
	;; [unrolled: 1-line block ×4, first 2 shown]
	s_clause 0x1
	scratch_store_b128 off, v[24:27], s33 offset:608
	scratch_store_b128 off, v[28:31], s33 offset:624
	s_wait_loadcnt 0x0
	;;#ASMSTART
	v_cvt_off_f32_i4 v0, v20
	;;#ASMEND
	v_ashrrev_i32_e32 v1, 16, v20
	v_ashrrev_i32_e32 v2, 8, v20
	;; [unrolled: 1-line block ×28, first 2 shown]
	;;#ASMSTART
	v_cvt_off_f32_i4 v1, v1
	;;#ASMEND
	;;#ASMSTART
	v_cvt_off_f32_i4 v2, v2
	;;#ASMEND
	;; [unrolled: 3-line block ×27, first 2 shown]
	v_cvt_pk_fp8_f32 v32, v0, v1
	v_cvt_pk_fp8_f32 v33, v2, v24
	;; [unrolled: 1-line block ×8, first 2 shown]
	;;#ASMSTART
	v_cvt_off_f32_i4 v83, v83
	;;#ASMEND
	;;#ASMSTART
	v_cvt_off_f32_i4 v84, v84
	;;#ASMEND
	;; [unrolled: 3-line block ×4, first 2 shown]
	v_cvt_pk_fp8_f32 v32, v25, v26 op_sel:[0,0,1]
	v_cvt_pk_fp8_f32 v33, v27, v20 op_sel:[0,0,1]
	;; [unrolled: 1-line block ×8, first 2 shown]
	s_clause 0x1
	scratch_store_b128 off, v[32:35], s33 offset:544
	scratch_store_b128 off, v[36:39], s33 offset:560
	; sched_barrier mask(0x00000000)
	scratch_load_b128 v[36:39], off, s33 offset:512
	s_clause 0x1
	flat_load_b128 v[24:27], v[52:53] offset:784
	flat_load_b128 v[20:23], v[52:53] offset:768
	scratch_load_b128 v[48:51], off, s33 offset:576
	s_clause 0x1
	flat_load_b128 v[32:35], v[52:53] offset:816
	flat_load_b128 v[28:31], v[52:53] offset:800
	s_clause 0x2
	scratch_load_b128 v[66:69], off, s33 offset:528
	scratch_load_b128 v[112:115], off, s33 offset:592
	;; [unrolled: 1-line block ×3, first 2 shown]
	s_clause 0x1
	flat_load_b128 v[84:87], v[52:53] offset:848
	flat_load_b128 v[80:83], v[52:53] offset:832
	scratch_load_b128 v[128:131], off, s33 offset:704
	s_clause 0x1
	flat_load_b128 v[100:103], v[52:53] offset:880
	flat_load_b128 v[96:99], v[52:53] offset:864
	s_clause 0x1
	scratch_load_b128 v[132:135], off, s33 offset:656
	scratch_load_b128 v[144:147], off, s33 offset:720
	s_wait_loadcnt_dscnt 0xd06
	v_wmma_f32_16x16x16_fp8_fp8 v[20:27], v[16:17], v[36:37], v[20:27]
	s_wait_loadcnt_dscnt 0xa04
	v_wmma_f32_16x16x16_fp8_fp8 v[28:35], v[16:17], v[48:49], v[28:35]
	s_delay_alu instid0(VALU_DEP_2)
	v_wmma_f32_16x16x16_fp8_fp8 v[20:27], v[18:19], v[38:39], v[20:27]
	scratch_load_b128 v[36:39], off, s33 offset:544
	v_wmma_f32_16x16x16_fp8_fp8 v[28:35], v[18:19], v[50:51], v[28:35]
	scratch_load_b128 v[48:51], off, s33 offset:608
	s_wait_loadcnt 0xb
	v_wmma_f32_16x16x16_fp8_fp8 v[20:27], v[12:13], v[66:67], v[20:27]
	s_wait_loadcnt 0xa
	v_wmma_f32_16x16x16_fp8_fp8 v[28:35], v[12:13], v[112:113], v[28:35]
	s_delay_alu instid0(VALU_DEP_2)
	v_wmma_f32_16x16x16_fp8_fp8 v[20:27], v[14:15], v[68:69], v[20:27]
	scratch_load_b128 v[66:69], off, s33 offset:560
	v_wmma_f32_16x16x16_fp8_fp8 v[28:35], v[14:15], v[114:115], v[28:35]
	scratch_load_b128 v[112:115], off, s33 offset:624
	s_wait_loadcnt_dscnt 0x902
	v_wmma_f32_16x16x16_fp8_fp8 v[80:87], v[16:17], v[116:117], v[80:87]
	s_wait_loadcnt_dscnt 0x600
	v_wmma_f32_16x16x16_fp8_fp8 v[96:103], v[16:17], v[128:129], v[96:103]
	; sched_group_barrier mask(0x00000008) size(8) SyncID(0)
	; sched_group_barrier mask(0x00000100) size(1) SyncID(0)
	s_delay_alu instid0(VALU_DEP_2)
	v_wmma_f32_16x16x16_fp8_fp8 v[80:87], v[18:19], v[118:119], v[80:87]
	scratch_load_b128 v[116:119], off, s33 offset:672
	v_wmma_f32_16x16x16_fp8_fp8 v[96:103], v[18:19], v[130:131], v[96:103]
	s_clause 0x1
	scratch_load_b128 v[16:19], off, s33 offset:736
	scratch_load_b128 v[128:131], off, s33 offset:688
	s_wait_loadcnt 0x8
	v_wmma_f32_16x16x16_fp8_fp8 v[80:87], v[12:13], v[132:133], v[80:87]
	s_wait_loadcnt 0x7
	v_wmma_f32_16x16x16_fp8_fp8 v[96:103], v[12:13], v[144:145], v[96:103]
	s_delay_alu instid0(VALU_DEP_2)
	v_wmma_f32_16x16x16_fp8_fp8 v[80:87], v[14:15], v[134:135], v[80:87]
	scratch_load_b128 v[132:135], off, s33 offset:752
	v_wmma_f32_16x16x16_fp8_fp8 v[96:103], v[14:15], v[146:147], v[96:103]
	; sched_group_barrier mask(0x00000008) size(8) SyncID(0)
	; sched_group_barrier mask(0x00000100) size(1) SyncID(0)
	s_wait_loadcnt 0x7
	v_wmma_f32_16x16x16_fp8_fp8 v[20:27], v[8:9], v[36:37], v[20:27]
	s_wait_loadcnt 0x6
	v_wmma_f32_16x16x16_fp8_fp8 v[28:35], v[8:9], v[48:49], v[28:35]
	s_delay_alu instid0(VALU_DEP_2)
	v_wmma_f32_16x16x16_fp8_fp8 v[20:27], v[10:11], v[38:39], v[20:27]
	scratch_load_b128 v[36:39], off, s33
	v_wmma_f32_16x16x16_fp8_fp8 v[28:35], v[10:11], v[50:51], v[28:35]
	s_wait_loadcnt 0x6
	v_wmma_f32_16x16x16_fp8_fp8 v[20:27], v[4:5], v[66:67], v[20:27]
	s_wait_loadcnt 0x5
	s_delay_alu instid0(VALU_DEP_2) | instskip(NEXT) | instid1(VALU_DEP_2)
	v_wmma_f32_16x16x16_fp8_fp8 v[28:35], v[4:5], v[112:113], v[28:35]
	v_wmma_f32_16x16x16_fp8_fp8 v[20:27], v[6:7], v[68:69], v[20:27]
	s_delay_alu instid0(VALU_DEP_2)
	v_wmma_f32_16x16x16_fp8_fp8 v[28:35], v[6:7], v[114:115], v[28:35]
	; sched_group_barrier mask(0x00000008) size(8) SyncID(0)
	; sched_group_barrier mask(0x00000100) size(1) SyncID(0)
	s_wait_loadcnt 0x4
	v_wmma_f32_16x16x16_fp8_fp8 v[80:87], v[8:9], v[116:117], v[80:87]
	flat_store_b128 v[52:53], v[20:23] offset:768
	s_wait_loadcnt 0x3
	v_wmma_f32_16x16x16_fp8_fp8 v[96:103], v[8:9], v[16:17], v[96:103]
	s_clause 0x1
	flat_store_b128 v[52:53], v[24:27] offset:784
	flat_store_b128 v[52:53], v[28:31] offset:800
	v_wmma_f32_16x16x16_fp8_fp8 v[80:87], v[10:11], v[118:119], v[80:87]
	flat_store_b128 v[52:53], v[32:35] offset:816
	v_wmma_f32_16x16x16_fp8_fp8 v[96:103], v[10:11], v[18:19], v[96:103]
	s_wait_loadcnt 0x2
	v_wmma_f32_16x16x16_fp8_fp8 v[80:87], v[4:5], v[128:129], v[80:87]
	s_wait_loadcnt 0x1
	s_delay_alu instid0(VALU_DEP_2) | instskip(NEXT) | instid1(VALU_DEP_2)
	v_wmma_f32_16x16x16_fp8_fp8 v[96:103], v[4:5], v[132:133], v[96:103]
	v_wmma_f32_16x16x16_fp8_fp8 v[80:87], v[6:7], v[130:131], v[80:87]
	s_delay_alu instid0(VALU_DEP_2)
	v_wmma_f32_16x16x16_fp8_fp8 v[96:103], v[6:7], v[134:135], v[96:103]
	; sched_group_barrier mask(0x00000008) size(8) SyncID(0)
	; sched_group_barrier mask(0x00000100) size(1) SyncID(0)
	s_clause 0x3
	flat_store_b128 v[52:53], v[84:87] offset:848
	flat_store_b128 v[52:53], v[80:83] offset:832
	;; [unrolled: 1-line block ×4, first 2 shown]
	s_clause 0x3
	flat_load_b64 v[8:9], v[64:65] offset:1148
	flat_load_b64 v[10:11], v[64:65] offset:1164
	flat_load_b128 v[4:7], v[64:65] offset:1176
	flat_load_b96 v[0:2], v[64:65] offset:1132
	flat_load_b64 v[12:13], v[54:55]
	s_wait_loadcnt 0x5
	v_ashrrev_i32_e32 v22, 16, v36
	v_ashrrev_i32_e32 v23, 8, v36
	;; [unrolled: 1-line block ×27, first 2 shown]
	s_wait_loadcnt_dscnt 0x303
	v_sub_nc_u32_e32 v8, v8, v11
	s_wait_loadcnt_dscnt 0x202
	v_add_nc_u32_e32 v14, 16, v7
	v_add_nc_u32_e32 v4, v10, v4
	v_sub_nc_u32_e32 v11, v9, v10
	s_wait_loadcnt_dscnt 0x101
	v_sub_nc_u32_e32 v6, v0, v6
	v_add3_u32 v5, v8, v5, 0xe0
	v_add_nc_u32_e32 v8, 64, v7
	v_add_nc_u32_e32 v7, 0x50, v7
	v_ashrrev_i32_e32 v10, 31, v14
	v_sub_nc_u32_e32 v4, v9, v4
	v_ashrrev_i32_e32 v9, 31, v5
	v_ashrrev_i32_e32 v15, 31, v8
	;; [unrolled: 1-line block ×3, first 2 shown]
	v_lshrrev_b32_e32 v10, 28, v10
	v_sub_nc_u32_e32 v2, v5, v2
	v_lshrrev_b32_e32 v9, 29, v9
	v_lshrrev_b32_e32 v15, 28, v15
	;; [unrolled: 1-line block ×3, first 2 shown]
	v_add_nc_u32_e32 v10, v14, v10
	v_lshlrev_b32_e32 v2, 7, v2
	v_add_nc_u32_e32 v9, v5, v9
	v_add_nc_u32_e32 v15, v8, v15
	v_add_nc_u32_e32 v16, v7, v16
	v_lshrrev_b32_e32 v17, 4, v10
	v_and_b32_e32 v10, -16, v10
	v_and_b32_e32 v9, -8, v9
	v_lshrrev_b32_e32 v18, 4, v15
	v_lshrrev_b32_e32 v19, 4, v16
	v_and_b32_e32 v15, -16, v15
	v_sub_nc_u32_e32 v10, v14, v10
	v_sub_nc_u32_e32 v5, v5, v9
	v_and_b32_e32 v9, -16, v16
	v_add_nc_u32_e32 v16, v17, v4
	v_add_nc_u32_e32 v17, v18, v4
	;; [unrolled: 1-line block ×3, first 2 shown]
	v_xor_b32_e32 v11, v5, v11
	v_add_nc_u32_e32 v6, v6, v2
	v_xor_b32_e32 v14, v16, v5
	v_xor_b32_e32 v16, v17, v5
	;; [unrolled: 1-line block ×3, first 2 shown]
	v_sub_nc_u32_e32 v5, v11, v1
	v_sub_nc_u32_e32 v8, v8, v15
	;; [unrolled: 1-line block ×5, first 2 shown]
	v_lshlrev_b32_e32 v4, 4, v5
	v_sub_nc_u32_e32 v5, v7, v9
	v_lshlrev_b32_e32 v7, 4, v11
	v_lshlrev_b32_e32 v9, 4, v14
	;; [unrolled: 1-line block ×3, first 2 shown]
	v_add3_u32 v0, v2, v0, v4
	v_ashrrev_i32_e32 v2, 12, v39
	v_add3_u32 v4, v10, v6, v7
	v_add3_u32 v7, v8, v6, v9
	;; [unrolled: 1-line block ×3, first 2 shown]
	v_ashrrev_i32_e32 v5, 31, v0
	s_wait_loadcnt_dscnt 0x0
	v_add_co_u32 v0, vcc_lo, v12, v0
	v_ashrrev_i32_e32 v8, 31, v4
	v_ashrrev_i32_e32 v9, 31, v7
	;; [unrolled: 1-line block ×3, first 2 shown]
	v_add_co_u32 v4, s0, v12, v4
	v_add_co_u32 v6, s1, v12, v7
	;; [unrolled: 1-line block ×3, first 2 shown]
	s_wait_alu 0xfffd
	v_add_co_ci_u32_e64 v1, null, v13, v5, vcc_lo
	s_wait_alu 0xf1ff
	v_add_co_ci_u32_e64 v5, null, v13, v8, s0
	v_add_co_ci_u32_e64 v7, null, v13, v9, s1
	;; [unrolled: 1-line block ×3, first 2 shown]
	s_clause 0x3
	flat_load_b128 v[16:19], v[0:1]
	flat_load_b128 v[12:15], v[4:5]
	;; [unrolled: 1-line block ×4, first 2 shown]
	;;#ASMSTART
	v_cvt_off_f32_i4 v0, v36
	;;#ASMEND
	;;#ASMSTART
	v_cvt_off_f32_i4 v1, v22
	;;#ASMEND
	;; [unrolled: 3-line block ×32, first 2 shown]
	scratch_load_b128 v[20:23], off, s33 offset:64
	v_dual_mov_b32 v24, 0 :: v_dual_mov_b32 v25, 0
	v_dual_mov_b32 v26, 0 :: v_dual_mov_b32 v27, 0
	;; [unrolled: 1-line block ×4, first 2 shown]
	s_delay_alu instid0(VALU_DEP_4)
	v_cvt_pk_fp8_f32 v24, v0, v1
	v_cvt_pk_fp8_f32 v25, v36, v71
	;; [unrolled: 1-line block ×8, first 2 shown]
	v_cvt_pk_fp8_f32 v24, v80, v81 op_sel:[0,0,1]
	v_cvt_pk_fp8_f32 v25, v82, v83 op_sel:[0,0,1]
	;; [unrolled: 1-line block ×8, first 2 shown]
	s_clause 0x1
	scratch_store_b128 off, v[24:27], s33 offset:512
	scratch_store_b128 off, v[28:31], s33 offset:528
	s_wait_loadcnt 0x0
	;;#ASMSTART
	v_cvt_off_f32_i4 v0, v20
	;;#ASMEND
	v_ashrrev_i32_e32 v1, 16, v20
	v_ashrrev_i32_e32 v2, 8, v20
	;; [unrolled: 1-line block ×28, first 2 shown]
	;;#ASMSTART
	v_cvt_off_f32_i4 v1, v1
	;;#ASMEND
	;;#ASMSTART
	v_cvt_off_f32_i4 v2, v2
	;;#ASMEND
	;; [unrolled: 3-line block ×31, first 2 shown]
	scratch_load_b128 v[20:23], off, s33 offset:128
	v_dual_mov_b32 v24, 0 :: v_dual_mov_b32 v25, 0
	v_dual_mov_b32 v26, 0 :: v_dual_mov_b32 v27, 0
	;; [unrolled: 1-line block ×4, first 2 shown]
	s_delay_alu instid0(VALU_DEP_4)
	v_cvt_pk_fp8_f32 v24, v0, v1
	v_cvt_pk_fp8_f32 v25, v2, v67
	;; [unrolled: 1-line block ×8, first 2 shown]
	v_cvt_pk_fp8_f32 v24, v68, v69 op_sel:[0,0,1]
	v_cvt_pk_fp8_f32 v25, v70, v71 op_sel:[0,0,1]
	;; [unrolled: 1-line block ×8, first 2 shown]
	s_clause 0x1
	scratch_store_b128 off, v[24:27], s33 offset:576
	scratch_store_b128 off, v[28:31], s33 offset:592
	s_wait_loadcnt 0x0
	;;#ASMSTART
	v_cvt_off_f32_i4 v0, v20
	;;#ASMEND
	v_ashrrev_i32_e32 v1, 16, v20
	v_ashrrev_i32_e32 v2, 8, v20
	;; [unrolled: 1-line block ×28, first 2 shown]
	;;#ASMSTART
	v_cvt_off_f32_i4 v1, v1
	;;#ASMEND
	;;#ASMSTART
	v_cvt_off_f32_i4 v2, v2
	;;#ASMEND
	;; [unrolled: 3-line block ×31, first 2 shown]
	scratch_load_b128 v[20:23], off, s33 offset:192
	v_dual_mov_b32 v24, 0 :: v_dual_mov_b32 v25, 0
	v_dual_mov_b32 v26, 0 :: v_dual_mov_b32 v27, 0
	;; [unrolled: 1-line block ×4, first 2 shown]
	s_delay_alu instid0(VALU_DEP_4)
	v_cvt_pk_fp8_f32 v24, v0, v1
	v_cvt_pk_fp8_f32 v25, v2, v67
	;; [unrolled: 1-line block ×8, first 2 shown]
	v_cvt_pk_fp8_f32 v24, v68, v69 op_sel:[0,0,1]
	v_cvt_pk_fp8_f32 v25, v70, v71 op_sel:[0,0,1]
	;; [unrolled: 1-line block ×8, first 2 shown]
	s_clause 0x1
	scratch_store_b128 off, v[24:27], s33 offset:640
	scratch_store_b128 off, v[28:31], s33 offset:656
	s_wait_loadcnt 0x0
	;;#ASMSTART
	v_cvt_off_f32_i4 v0, v20
	;;#ASMEND
	v_ashrrev_i32_e32 v1, 16, v20
	v_ashrrev_i32_e32 v2, 8, v20
	;; [unrolled: 1-line block ×28, first 2 shown]
	;;#ASMSTART
	v_cvt_off_f32_i4 v1, v1
	;;#ASMEND
	;;#ASMSTART
	v_cvt_off_f32_i4 v2, v2
	;;#ASMEND
	;; [unrolled: 3-line block ×31, first 2 shown]
	scratch_load_b128 v[20:23], off, s33 offset:224
	v_dual_mov_b32 v24, 0 :: v_dual_mov_b32 v25, 0
	v_dual_mov_b32 v26, 0 :: v_dual_mov_b32 v27, 0
	;; [unrolled: 1-line block ×4, first 2 shown]
	s_delay_alu instid0(VALU_DEP_4)
	v_cvt_pk_fp8_f32 v24, v0, v1
	v_cvt_pk_fp8_f32 v25, v2, v67
	;; [unrolled: 1-line block ×8, first 2 shown]
	v_cvt_pk_fp8_f32 v24, v68, v69 op_sel:[0,0,1]
	v_cvt_pk_fp8_f32 v25, v70, v71 op_sel:[0,0,1]
	;; [unrolled: 1-line block ×8, first 2 shown]
	s_clause 0x1
	scratch_store_b128 off, v[24:27], s33 offset:704
	scratch_store_b128 off, v[28:31], s33 offset:720
	s_wait_loadcnt 0x0
	;;#ASMSTART
	v_cvt_off_f32_i4 v0, v20
	;;#ASMEND
	v_ashrrev_i32_e32 v1, 16, v20
	v_ashrrev_i32_e32 v2, 8, v20
	;; [unrolled: 1-line block ×28, first 2 shown]
	;;#ASMSTART
	v_cvt_off_f32_i4 v1, v1
	;;#ASMEND
	;;#ASMSTART
	v_cvt_off_f32_i4 v2, v2
	;;#ASMEND
	;; [unrolled: 3-line block ×31, first 2 shown]
	scratch_load_b128 v[20:23], off, s33 offset:160
	v_dual_mov_b32 v24, 0 :: v_dual_mov_b32 v25, 0
	v_dual_mov_b32 v26, 0 :: v_dual_mov_b32 v27, 0
	;; [unrolled: 1-line block ×4, first 2 shown]
	s_delay_alu instid0(VALU_DEP_4)
	v_cvt_pk_fp8_f32 v24, v0, v1
	v_cvt_pk_fp8_f32 v25, v2, v67
	;; [unrolled: 1-line block ×8, first 2 shown]
	v_cvt_pk_fp8_f32 v24, v68, v69 op_sel:[0,0,1]
	v_cvt_pk_fp8_f32 v25, v70, v71 op_sel:[0,0,1]
	;; [unrolled: 1-line block ×8, first 2 shown]
	s_clause 0x1
	scratch_store_b128 off, v[24:27], s33 offset:736
	scratch_store_b128 off, v[28:31], s33 offset:752
	s_wait_loadcnt 0x0
	;;#ASMSTART
	v_cvt_off_f32_i4 v0, v20
	;;#ASMEND
	v_ashrrev_i32_e32 v1, 16, v20
	v_ashrrev_i32_e32 v2, 8, v20
	;; [unrolled: 1-line block ×28, first 2 shown]
	;;#ASMSTART
	v_cvt_off_f32_i4 v1, v1
	;;#ASMEND
	;;#ASMSTART
	v_cvt_off_f32_i4 v2, v2
	;;#ASMEND
	;;#ASMSTART
	v_cvt_off_f32_i4 v67, v24
	;;#ASMEND
	;;#ASMSTART
	v_cvt_off_f32_i4 v68, v25
	;;#ASMEND
	;;#ASMSTART
	v_cvt_off_f32_i4 v69, v26
	;;#ASMEND
	;;#ASMSTART
	v_cvt_off_f32_i4 v70, v27
	;;#ASMEND
	;;#ASMSTART
	v_cvt_off_f32_i4 v71, v20
	;;#ASMEND
	;;#ASMSTART
	v_cvt_off_f32_i4 v80, v21
	;;#ASMEND
	;;#ASMSTART
	v_cvt_off_f32_i4 v81, v28
	;;#ASMEND
	;;#ASMSTART
	v_cvt_off_f32_i4 v82, v29
	;;#ASMEND
	;;#ASMSTART
	v_cvt_off_f32_i4 v83, v30
	;;#ASMEND
	;;#ASMSTART
	v_cvt_off_f32_i4 v84, v31
	;;#ASMEND
	;;#ASMSTART
	v_cvt_off_f32_i4 v32, v32
	;;#ASMEND
	;;#ASMSTART
	v_cvt_off_f32_i4 v33, v33
	;;#ASMEND
	;;#ASMSTART
	v_cvt_off_f32_i4 v34, v34
	;;#ASMEND
	;;#ASMSTART
	v_cvt_off_f32_i4 v85, v22
	;;#ASMEND
	;;#ASMSTART
	v_cvt_off_f32_i4 v35, v35
	;;#ASMEND
	;;#ASMSTART
	v_cvt_off_f32_i4 v36, v36
	;;#ASMEND
	;;#ASMSTART
	v_cvt_off_f32_i4 v37, v37
	;;#ASMEND
	;;#ASMSTART
	v_cvt_off_f32_i4 v38, v38
	;;#ASMEND
	;;#ASMSTART
	v_cvt_off_f32_i4 v39, v39
	;;#ASMEND
	;;#ASMSTART
	v_cvt_off_f32_i4 v48, v48
	;;#ASMEND
	;;#ASMSTART
	v_cvt_off_f32_i4 v49, v49
	;;#ASMEND
	;;#ASMSTART
	v_cvt_off_f32_i4 v86, v23
	;;#ASMEND
	;;#ASMSTART
	v_cvt_off_f32_i4 v50, v50
	;;#ASMEND
	;;#ASMSTART
	v_cvt_off_f32_i4 v51, v51
	;;#ASMEND
	;;#ASMSTART
	v_cvt_off_f32_i4 v54, v54
	;;#ASMEND
	;;#ASMSTART
	v_cvt_off_f32_i4 v55, v55
	;;#ASMEND
	;;#ASMSTART
	v_cvt_off_f32_i4 v64, v64
	;;#ASMEND
	;;#ASMSTART
	v_cvt_off_f32_i4 v65, v65
	;;#ASMEND
	;;#ASMSTART
	v_cvt_off_f32_i4 v66, v66
	;;#ASMEND
	scratch_load_b128 v[20:23], off, s33 offset:96
	v_dual_mov_b32 v24, 0 :: v_dual_mov_b32 v25, 0
	v_dual_mov_b32 v26, 0 :: v_dual_mov_b32 v27, 0
	;; [unrolled: 1-line block ×4, first 2 shown]
	s_delay_alu instid0(VALU_DEP_4)
	v_cvt_pk_fp8_f32 v24, v0, v1
	v_cvt_pk_fp8_f32 v25, v2, v67
	;; [unrolled: 1-line block ×8, first 2 shown]
	v_cvt_pk_fp8_f32 v24, v68, v69 op_sel:[0,0,1]
	v_cvt_pk_fp8_f32 v25, v70, v71 op_sel:[0,0,1]
	;; [unrolled: 1-line block ×8, first 2 shown]
	s_clause 0x1
	scratch_store_b128 off, v[24:27], s33 offset:672
	scratch_store_b128 off, v[28:31], s33 offset:688
	s_wait_loadcnt 0x0
	;;#ASMSTART
	v_cvt_off_f32_i4 v0, v20
	;;#ASMEND
	v_ashrrev_i32_e32 v1, 16, v20
	v_ashrrev_i32_e32 v2, 8, v20
	;; [unrolled: 1-line block ×28, first 2 shown]
	;;#ASMSTART
	v_cvt_off_f32_i4 v1, v1
	;;#ASMEND
	;;#ASMSTART
	v_cvt_off_f32_i4 v2, v2
	;;#ASMEND
	;; [unrolled: 3-line block ×31, first 2 shown]
	scratch_load_b128 v[20:23], off, s33 offset:32
	v_dual_mov_b32 v24, 0 :: v_dual_mov_b32 v25, 0
	v_dual_mov_b32 v26, 0 :: v_dual_mov_b32 v27, 0
	;; [unrolled: 1-line block ×4, first 2 shown]
	s_delay_alu instid0(VALU_DEP_4)
	v_cvt_pk_fp8_f32 v24, v0, v1
	v_cvt_pk_fp8_f32 v25, v2, v67
	;; [unrolled: 1-line block ×8, first 2 shown]
	v_cvt_pk_fp8_f32 v24, v68, v69 op_sel:[0,0,1]
	v_cvt_pk_fp8_f32 v25, v70, v71 op_sel:[0,0,1]
	;; [unrolled: 1-line block ×8, first 2 shown]
	v_dual_mov_b32 v32, 0 :: v_dual_mov_b32 v33, 0
	v_dual_mov_b32 v34, 0 :: v_dual_mov_b32 v35, 0
	;; [unrolled: 1-line block ×3, first 2 shown]
	v_mov_b32_e32 v2, 0
	s_clause 0x1
	scratch_store_b128 off, v[24:27], s33 offset:608
	scratch_store_b128 off, v[28:31], s33 offset:624
	s_wait_loadcnt 0x0
	;;#ASMSTART
	v_cvt_off_f32_i4 v24, v20
	;;#ASMEND
	v_ashrrev_i32_e32 v25, 16, v20
	v_ashrrev_i32_e32 v26, 8, v20
	;; [unrolled: 1-line block ×28, first 2 shown]
	;;#ASMSTART
	v_cvt_off_f32_i4 v25, v25
	;;#ASMEND
	;;#ASMSTART
	v_cvt_off_f32_i4 v26, v26
	;;#ASMEND
	;; [unrolled: 3-line block ×27, first 2 shown]
	v_cvt_pk_fp8_f32 v32, v24, v25
	v_cvt_pk_fp8_f32 v33, v26, v27
	;; [unrolled: 1-line block ×8, first 2 shown]
	;;#ASMSTART
	v_cvt_off_f32_i4 v70, v70
	;;#ASMEND
	;;#ASMSTART
	v_cvt_off_f32_i4 v71, v71
	;;#ASMEND
	;; [unrolled: 3-line block ×4, first 2 shown]
	v_cvt_pk_fp8_f32 v32, v28, v29 op_sel:[0,0,1]
	v_cvt_pk_fp8_f32 v33, v30, v20 op_sel:[0,0,1]
	v_cvt_pk_fp8_f32 v34, v38, v39 op_sel:[0,0,1]
	v_cvt_pk_fp8_f32 v35, v48, v49 op_sel:[0,0,1]
	v_cvt_pk_fp8_f32 v0, v55, v64 op_sel:[0,0,1]
	v_cvt_pk_fp8_f32 v1, v65, v66 op_sel:[0,0,1]
	v_cvt_pk_fp8_f32 v2, v70, v71 op_sel:[0,0,1]
	v_cvt_pk_fp8_f32 v3, v80, v81 op_sel:[0,0,1]
	s_clause 0x1
	scratch_store_b128 off, v[32:35], s33 offset:544
	scratch_store_b128 off, v[0:3], s33 offset:560
	; sched_barrier mask(0x00000000)
	scratch_load_b128 v[0:3], off, s33 offset:512
	s_clause 0x1
	flat_load_b128 v[24:27], v[52:53] offset:912
	flat_load_b128 v[20:23], v[52:53] offset:896
	scratch_load_b128 v[36:39], off, s33 offset:576
	s_clause 0x1
	flat_load_b128 v[32:35], v[52:53] offset:944
	flat_load_b128 v[28:31], v[52:53] offset:928
	;; [unrolled: 4-line block ×4, first 2 shown]
	s_clause 0x5
	scratch_load_b128 v[100:103], off, s33 offset:528
	scratch_load_b128 v[112:115], off, s33 offset:592
	;; [unrolled: 1-line block ×6, first 2 shown]
	v_readlane_b32 s30, v40, 0
	v_readlane_b32 s31, v40, 1
	s_mov_b32 s32, s33
	s_wait_loadcnt_dscnt 0xf06
	v_wmma_f32_16x16x16_fp8_fp8 v[20:27], v[16:17], v[0:1], v[20:27]
	s_wait_loadcnt_dscnt 0xc04
	v_wmma_f32_16x16x16_fp8_fp8 v[28:35], v[16:17], v[36:37], v[28:35]
	s_delay_alu instid0(VALU_DEP_2)
	v_wmma_f32_16x16x16_fp8_fp8 v[20:27], v[18:19], v[2:3], v[20:27]
	scratch_load_b128 v[0:3], off, s33 offset:672
	s_wait_loadcnt_dscnt 0xa02
	v_wmma_f32_16x16x16_fp8_fp8 v[64:71], v[16:17], v[48:49], v[64:71]
	v_wmma_f32_16x16x16_fp8_fp8 v[28:35], v[18:19], v[38:39], v[28:35]
	scratch_load_b128 v[36:39], off, s33 offset:736
	s_wait_loadcnt_dscnt 0x800
	v_wmma_f32_16x16x16_fp8_fp8 v[80:87], v[16:17], v[96:97], v[80:87]
	s_wait_loadcnt 0x7
	v_wmma_f32_16x16x16_fp8_fp8 v[20:27], v[12:13], v[100:101], v[20:27]
	v_wmma_f32_16x16x16_fp8_fp8 v[64:71], v[18:19], v[50:51], v[64:71]
	scratch_load_b128 v[48:51], off, s33 offset:560
	s_wait_loadcnt 0x7
	v_wmma_f32_16x16x16_fp8_fp8 v[28:35], v[12:13], v[112:113], v[28:35]
	v_wmma_f32_16x16x16_fp8_fp8 v[80:87], v[18:19], v[98:99], v[80:87]
	s_clause 0x1
	scratch_load_b128 v[16:19], off, s33 offset:624
	scratch_load_b128 v[96:99], off, s33 offset:688
	v_wmma_f32_16x16x16_fp8_fp8 v[20:27], v[14:15], v[102:103], v[20:27]
	scratch_load_b128 v[100:103], off, s33 offset:752
	s_wait_loadcnt 0x9
	v_wmma_f32_16x16x16_fp8_fp8 v[64:71], v[12:13], v[116:117], v[64:71]
	s_wait_loadcnt 0x8
	v_wmma_f32_16x16x16_fp8_fp8 v[80:87], v[12:13], v[128:129], v[80:87]
	v_wmma_f32_16x16x16_fp8_fp8 v[28:35], v[14:15], v[114:115], v[28:35]
	s_wait_loadcnt 0x7
	v_wmma_f32_16x16x16_fp8_fp8 v[20:27], v[8:9], v[132:133], v[20:27]
	v_wmma_f32_16x16x16_fp8_fp8 v[64:71], v[14:15], v[118:119], v[64:71]
	;; [unrolled: 1-line block ×3, first 2 shown]
	s_wait_loadcnt 0x6
	v_wmma_f32_16x16x16_fp8_fp8 v[28:35], v[8:9], v[144:145], v[28:35]
	v_wmma_f32_16x16x16_fp8_fp8 v[20:27], v[10:11], v[134:135], v[20:27]
	s_delay_alu instid0(VALU_DEP_2) | instskip(SKIP_4) | instid1(VALU_DEP_2)
	v_wmma_f32_16x16x16_fp8_fp8 v[28:35], v[10:11], v[146:147], v[28:35]
	s_wait_loadcnt 0x5
	v_wmma_f32_16x16x16_fp8_fp8 v[64:71], v[8:9], v[0:1], v[64:71]
	s_wait_loadcnt 0x4
	v_wmma_f32_16x16x16_fp8_fp8 v[80:87], v[8:9], v[36:37], v[80:87]
	v_wmma_f32_16x16x16_fp8_fp8 v[64:71], v[10:11], v[2:3], v[64:71]
	s_wait_loadcnt 0x3
	v_wmma_f32_16x16x16_fp8_fp8 v[20:27], v[4:5], v[48:49], v[20:27]
	s_delay_alu instid0(VALU_DEP_3)
	v_wmma_f32_16x16x16_fp8_fp8 v[80:87], v[10:11], v[38:39], v[80:87]
	s_wait_loadcnt 0x2
	v_wmma_f32_16x16x16_fp8_fp8 v[28:35], v[4:5], v[16:17], v[28:35]
	s_wait_loadcnt 0x1
	v_wmma_f32_16x16x16_fp8_fp8 v[64:71], v[4:5], v[96:97], v[64:71]
	v_wmma_f32_16x16x16_fp8_fp8 v[20:27], v[6:7], v[50:51], v[20:27]
	s_wait_loadcnt 0x0
	v_wmma_f32_16x16x16_fp8_fp8 v[80:87], v[4:5], v[100:101], v[80:87]
	v_wmma_f32_16x16x16_fp8_fp8 v[28:35], v[6:7], v[18:19], v[28:35]
	;; [unrolled: 1-line block ×3, first 2 shown]
	flat_store_b128 v[52:53], v[20:23] offset:896
	v_wmma_f32_16x16x16_fp8_fp8 v[80:87], v[6:7], v[102:103], v[80:87]
	s_clause 0x6
	flat_store_b128 v[52:53], v[24:27] offset:912
	flat_store_b128 v[52:53], v[28:31] offset:928
	;; [unrolled: 1-line block ×7, first 2 shown]
	s_or_saveexec_b32 s0, -1
	scratch_load_b32 v40, off, s33 offset:1024 ; 4-byte Folded Reload
	s_wait_alu 0xfffe
	s_mov_b32 exec_lo, s0
	s_mov_b32 s33, s13
	s_wait_loadcnt_dscnt 0x0
	s_wait_alu 0xfffe
	s_setpc_b64 s[30:31]
.Lfunc_end6:
	.size	_ZNK2ck52BlockwiseGemmXdlops_pipeline_bpreshuffle_bdequant_v3ILNS_26BlockGemmPipelineSchedulerE0ELi256ENS_9f8_fnuz_tENS_7pk_i4_tES2_fNS_16TensorDescriptorINS_5TupleIJNS_5EmbedINS5_IJNS_17integral_constantIiLi8EEENS7_IiLi256EEENS7_IiLi16EEEEEENS5_IJSA_NS7_IiLi128EEENS7_IiLi1EEEEEELb0EEENS_3XorINS5_IJS9_S8_EEELb1EEENS_11PassThroughISA_EENS_7UnMergeINS5_IJS8_SD_EEELb0EEENSJ_IS9_EESK_NSJ_IS8_EENS_21Merge_v3_division_modINS5_IJS9_SD_EEEEESK_EEENS5_IJNS_8SequenceIJLi0EEEENSU_IJLi2ELi1EEEENSU_IJLi3EEEENSU_IJLi5EEEENSU_IJLi4EEEENSU_IJLi6EEEENSU_IJLi7EEEENSU_IJLi9ELi8EEEENSU_IJLi10EEEEEEENS5_IJNSU_IJLi1ELi2ELi3EEEENSU_IJLi4ELi5EEEES10_NSU_IJLi7ELi8EEEENSU_IJLi9EEEES13_NSU_IJLi11EEEENSU_IJLi12EEEENSU_IJLi13EEEEEEENSU_IJLi11ELi12ELi13EEEENS7_IlLl32768EEEEENS4_INS5_IJNSL_INS5_IJNS7_IiLi4EEESD_NS7_IiLi2EEENS7_IiLi32EEEEEELb0EEEEEENS5_IJSV_EEENS5_IJNSU_IJLi1ELi2ELi3ELi4EEEEEEES1N_NS7_IlLl256EEEEENS4_INS5_IJSF_SI_SK_SN_SO_SK_SP_SS_SK_NSQ_INS5_IJS8_SA_EEEEENSL_INS5_IJS8_S1H_SA_EEELb0EEEEEENS5_IJSV_SW_SX_SY_SZ_S10_S11_S12_S13_NSU_IJLi11ELi13EEEES1A_EEENS5_IJS15_S16_S10_S17_S18_S13_S19_S1A_S1B_NSU_IJLi14EEEENSU_IJLi15ELi16ELi17EEEEEEENSU_IJLi15ELi16ELi17ELi14EEEES1E_EENS4_INS5_IJS1K_NSQ_INS5_IJS1G_S1H_EEEEENSL_INS5_IJS1G_S1G_SA_EEELb0EEEEEENS5_IJSV_NSU_IJLi1ELi3EEEENSU_IJLi2EEEEEEENS5_IJS1N_SY_NSU_IJLi6ELi7ELi8EEEEEEENSU_IJLi6ELi7ELi8ELi5EEEES1P_EELi16ELi32ELi256ELi256ELi128ELi16ELi16ELi8ELi4ELi32ELb0EE3RunILb1ELNS_10TailNumberE0ENS4_INS5_IJNS6_INS5_IJiiEEENS5_IJiSD_EEELb0EEENSL_IS2I_Lb0EEENSJ_IiEEEEENS5_IJSV_S29_NSU_IJLi1EEEEEEENS5_IJNSU_IJLi1ELi2EEEENSU_IJLi3ELi4EEEESY_EEENSU_IJLi3ELi5ELi4EEEElEES1F_NS_35ThreadGroupTensorSliceTransfer_v4r1INS_15ThisThreadBlockILi256EEENS_16tensor_operation12element_wise11PassThroughES30_LNS_25InMemoryDataOperationEnumE0ENSU_IJLi8ELi256ELi16EEEENSU_IJLi8ELi32ELi1EEEENSU_IJLi1ELi0ELi2EEEES2_S2_RKS2U_KS1F_S34_NSU_IJLi0ELi1ELi2EEEELi2ELi2ELi16ELi16ELi1ELi1ELb0ELb1ELi2EiEENS_13DynamicBufferILNS_16AddressSpaceEnumE1EKS2_lLb1ELNS_22AmdBufferCoherenceEnumE0EiEENS5_IJNS3A_ILS3B_2ES2_S1E_Lb1ELS3D_0EiEES3F_EEENS5_IJiiiEEENS4_INS5_IJNS6_INS5_IJiiiiEEENS5_IJiiiSD_EEELb0EEEEEES1M_S1O_S1N_lEENS_32ThreadwiseTensorSliceTransfer_v2IS3_S3_RKS3M_KS1Q_NSU_IJLi4ELi1ELi2ELi32EEEENSU_IJLi1ELi2ELi0ELi3EEEELi3ELi32ELi0ELb1ELb0ELb0EEENS3A_ILS3B_1EKS3_lLb1ELS3D_0EiEENS5_IJNS_12StaticBufferILS3B_4ES3_Li256ELb1EEES3X_EEES3I_NS_25StaticBufferTupleOfVectorILS3B_4EfLi32ELi8ELb1ELb0EEEEEvRKT1_RKT2_RT3_RKT4_RT5_RKT6_RKT7_RT8_RKT9_RT10_RKT11_RT12_i, .Lfunc_end6-_ZNK2ck52BlockwiseGemmXdlops_pipeline_bpreshuffle_bdequant_v3ILNS_26BlockGemmPipelineSchedulerE0ELi256ENS_9f8_fnuz_tENS_7pk_i4_tES2_fNS_16TensorDescriptorINS_5TupleIJNS_5EmbedINS5_IJNS_17integral_constantIiLi8EEENS7_IiLi256EEENS7_IiLi16EEEEEENS5_IJSA_NS7_IiLi128EEENS7_IiLi1EEEEEELb0EEENS_3XorINS5_IJS9_S8_EEELb1EEENS_11PassThroughISA_EENS_7UnMergeINS5_IJS8_SD_EEELb0EEENSJ_IS9_EESK_NSJ_IS8_EENS_21Merge_v3_division_modINS5_IJS9_SD_EEEEESK_EEENS5_IJNS_8SequenceIJLi0EEEENSU_IJLi2ELi1EEEENSU_IJLi3EEEENSU_IJLi5EEEENSU_IJLi4EEEENSU_IJLi6EEEENSU_IJLi7EEEENSU_IJLi9ELi8EEEENSU_IJLi10EEEEEEENS5_IJNSU_IJLi1ELi2ELi3EEEENSU_IJLi4ELi5EEEES10_NSU_IJLi7ELi8EEEENSU_IJLi9EEEES13_NSU_IJLi11EEEENSU_IJLi12EEEENSU_IJLi13EEEEEEENSU_IJLi11ELi12ELi13EEEENS7_IlLl32768EEEEENS4_INS5_IJNSL_INS5_IJNS7_IiLi4EEESD_NS7_IiLi2EEENS7_IiLi32EEEEEELb0EEEEEENS5_IJSV_EEENS5_IJNSU_IJLi1ELi2ELi3ELi4EEEEEEES1N_NS7_IlLl256EEEEENS4_INS5_IJSF_SI_SK_SN_SO_SK_SP_SS_SK_NSQ_INS5_IJS8_SA_EEEEENSL_INS5_IJS8_S1H_SA_EEELb0EEEEEENS5_IJSV_SW_SX_SY_SZ_S10_S11_S12_S13_NSU_IJLi11ELi13EEEES1A_EEENS5_IJS15_S16_S10_S17_S18_S13_S19_S1A_S1B_NSU_IJLi14EEEENSU_IJLi15ELi16ELi17EEEEEEENSU_IJLi15ELi16ELi17ELi14EEEES1E_EENS4_INS5_IJS1K_NSQ_INS5_IJS1G_S1H_EEEEENSL_INS5_IJS1G_S1G_SA_EEELb0EEEEEENS5_IJSV_NSU_IJLi1ELi3EEEENSU_IJLi2EEEEEEENS5_IJS1N_SY_NSU_IJLi6ELi7ELi8EEEEEEENSU_IJLi6ELi7ELi8ELi5EEEES1P_EELi16ELi32ELi256ELi256ELi128ELi16ELi16ELi8ELi4ELi32ELb0EE3RunILb1ELNS_10TailNumberE0ENS4_INS5_IJNS6_INS5_IJiiEEENS5_IJiSD_EEELb0EEENSL_IS2I_Lb0EEENSJ_IiEEEEENS5_IJSV_S29_NSU_IJLi1EEEEEEENS5_IJNSU_IJLi1ELi2EEEENSU_IJLi3ELi4EEEESY_EEENSU_IJLi3ELi5ELi4EEEElEES1F_NS_35ThreadGroupTensorSliceTransfer_v4r1INS_15ThisThreadBlockILi256EEENS_16tensor_operation12element_wise11PassThroughES30_LNS_25InMemoryDataOperationEnumE0ENSU_IJLi8ELi256ELi16EEEENSU_IJLi8ELi32ELi1EEEENSU_IJLi1ELi0ELi2EEEES2_S2_RKS2U_KS1F_S34_NSU_IJLi0ELi1ELi2EEEELi2ELi2ELi16ELi16ELi1ELi1ELb0ELb1ELi2EiEENS_13DynamicBufferILNS_16AddressSpaceEnumE1EKS2_lLb1ELNS_22AmdBufferCoherenceEnumE0EiEENS5_IJNS3A_ILS3B_2ES2_S1E_Lb1ELS3D_0EiEES3F_EEENS5_IJiiiEEENS4_INS5_IJNS6_INS5_IJiiiiEEENS5_IJiiiSD_EEELb0EEEEEES1M_S1O_S1N_lEENS_32ThreadwiseTensorSliceTransfer_v2IS3_S3_RKS3M_KS1Q_NSU_IJLi4ELi1ELi2ELi32EEEENSU_IJLi1ELi2ELi0ELi3EEEELi3ELi32ELi0ELb1ELb0ELb0EEENS3A_ILS3B_1EKS3_lLb1ELS3D_0EiEENS5_IJNS_12StaticBufferILS3B_4ES3_Li256ELb1EEES3X_EEES3I_NS_25StaticBufferTupleOfVectorILS3B_4EfLi32ELi8ELb1ELb0EEEEEvRKT1_RKT2_RT3_RKT4_RT5_RKT6_RKT7_RT8_RKT9_RT10_RKT11_RT12_i
                                        ; -- End function
	.set .L_ZNK2ck52BlockwiseGemmXdlops_pipeline_bpreshuffle_bdequant_v3ILNS_26BlockGemmPipelineSchedulerE0ELi256ENS_9f8_fnuz_tENS_7pk_i4_tES2_fNS_16TensorDescriptorINS_5TupleIJNS_5EmbedINS5_IJNS_17integral_constantIiLi8EEENS7_IiLi256EEENS7_IiLi16EEEEEENS5_IJSA_NS7_IiLi128EEENS7_IiLi1EEEEEELb0EEENS_3XorINS5_IJS9_S8_EEELb1EEENS_11PassThroughISA_EENS_7UnMergeINS5_IJS8_SD_EEELb0EEENSJ_IS9_EESK_NSJ_IS8_EENS_21Merge_v3_division_modINS5_IJS9_SD_EEEEESK_EEENS5_IJNS_8SequenceIJLi0EEEENSU_IJLi2ELi1EEEENSU_IJLi3EEEENSU_IJLi5EEEENSU_IJLi4EEEENSU_IJLi6EEEENSU_IJLi7EEEENSU_IJLi9ELi8EEEENSU_IJLi10EEEEEEENS5_IJNSU_IJLi1ELi2ELi3EEEENSU_IJLi4ELi5EEEES10_NSU_IJLi7ELi8EEEENSU_IJLi9EEEES13_NSU_IJLi11EEEENSU_IJLi12EEEENSU_IJLi13EEEEEEENSU_IJLi11ELi12ELi13EEEENS7_IlLl32768EEEEENS4_INS5_IJNSL_INS5_IJNS7_IiLi4EEESD_NS7_IiLi2EEENS7_IiLi32EEEEEELb0EEEEEENS5_IJSV_EEENS5_IJNSU_IJLi1ELi2ELi3ELi4EEEEEEES1N_NS7_IlLl256EEEEENS4_INS5_IJSF_SI_SK_SN_SO_SK_SP_SS_SK_NSQ_INS5_IJS8_SA_EEEEENSL_INS5_IJS8_S1H_SA_EEELb0EEEEEENS5_IJSV_SW_SX_SY_SZ_S10_S11_S12_S13_NSU_IJLi11ELi13EEEES1A_EEENS5_IJS15_S16_S10_S17_S18_S13_S19_S1A_S1B_NSU_IJLi14EEEENSU_IJLi15ELi16ELi17EEEEEEENSU_IJLi15ELi16ELi17ELi14EEEES1E_EENS4_INS5_IJS1K_NSQ_INS5_IJS1G_S1H_EEEEENSL_INS5_IJS1G_S1G_SA_EEELb0EEEEEENS5_IJSV_NSU_IJLi1ELi3EEEENSU_IJLi2EEEEEEENS5_IJS1N_SY_NSU_IJLi6ELi7ELi8EEEEEEENSU_IJLi6ELi7ELi8ELi5EEEES1P_EELi16ELi32ELi256ELi256ELi128ELi16ELi16ELi8ELi4ELi32ELb0EE3RunILb1ELNS_10TailNumberE0ENS4_INS5_IJNS6_INS5_IJiiEEENS5_IJiSD_EEELb0EEENSL_IS2I_Lb0EEENSJ_IiEEEEENS5_IJSV_S29_NSU_IJLi1EEEEEEENS5_IJNSU_IJLi1ELi2EEEENSU_IJLi3ELi4EEEESY_EEENSU_IJLi3ELi5ELi4EEEElEES1F_NS_35ThreadGroupTensorSliceTransfer_v4r1INS_15ThisThreadBlockILi256EEENS_16tensor_operation12element_wise11PassThroughES30_LNS_25InMemoryDataOperationEnumE0ENSU_IJLi8ELi256ELi16EEEENSU_IJLi8ELi32ELi1EEEENSU_IJLi1ELi0ELi2EEEES2_S2_RKS2U_KS1F_S34_NSU_IJLi0ELi1ELi2EEEELi2ELi2ELi16ELi16ELi1ELi1ELb0ELb1ELi2EiEENS_13DynamicBufferILNS_16AddressSpaceEnumE1EKS2_lLb1ELNS_22AmdBufferCoherenceEnumE0EiEENS5_IJNS3A_ILS3B_2ES2_S1E_Lb1ELS3D_0EiEES3F_EEENS5_IJiiiEEENS4_INS5_IJNS6_INS5_IJiiiiEEENS5_IJiiiSD_EEELb0EEEEEES1M_S1O_S1N_lEENS_32ThreadwiseTensorSliceTransfer_v2IS3_S3_RKS3M_KS1Q_NSU_IJLi4ELi1ELi2ELi32EEEENSU_IJLi1ELi2ELi0ELi3EEEELi3ELi32ELi0ELb1ELb0ELb0EEENS3A_ILS3B_1EKS3_lLb1ELS3D_0EiEENS5_IJNS_12StaticBufferILS3B_4ES3_Li256ELb1EEES3X_EEES3I_NS_25StaticBufferTupleOfVectorILS3B_4EfLi32ELi8ELb1ELb0EEEEEvRKT1_RKT2_RT3_RKT4_RT5_RKT6_RKT7_RT8_RKT9_RT10_RKT11_RT12_i.num_vgpr, max(152, .L_ZNK2ck44ThreadwiseTensorSliceTransfer_StaticToStaticINS_7pk_i4_tENS_9f8_fnuz_tEKNS_16TensorDescriptorINS_5TupleIJNS_7UnMergeINS4_IJNS_17integral_constantIiLi4EEENS6_IiLi1EEENS6_IiLi2EEENS6_IiLi32EEEEEELb0EEEEEENS4_IJNS_8SequenceIJLi0EEEEEEENS4_IJNSE_IJLi1ELi2ELi3ELi4EEEEEEESH_NS6_IlLl256EEEEESL_NS_16tensor_operation12element_wise11PassThroughENSE_IJLi4ELi1ELi2ELi32EEEENSE_IJLi1ELi2ELi0ELi3EEEELi3ELi32ELb0EE3RunINS4_IJNS6_IiLi0EEEST_ST_ST_EEESU_NS_12StaticBufferILNS_16AddressSpaceEnumE4ES1_Li256ELb1EEENSV_ILSW_4ES2_Li256ELb1EEEEEvRSL_RKT_RKT1_SZ_RKT0_RT2_.num_vgpr)
	.set .L_ZNK2ck52BlockwiseGemmXdlops_pipeline_bpreshuffle_bdequant_v3ILNS_26BlockGemmPipelineSchedulerE0ELi256ENS_9f8_fnuz_tENS_7pk_i4_tES2_fNS_16TensorDescriptorINS_5TupleIJNS_5EmbedINS5_IJNS_17integral_constantIiLi8EEENS7_IiLi256EEENS7_IiLi16EEEEEENS5_IJSA_NS7_IiLi128EEENS7_IiLi1EEEEEELb0EEENS_3XorINS5_IJS9_S8_EEELb1EEENS_11PassThroughISA_EENS_7UnMergeINS5_IJS8_SD_EEELb0EEENSJ_IS9_EESK_NSJ_IS8_EENS_21Merge_v3_division_modINS5_IJS9_SD_EEEEESK_EEENS5_IJNS_8SequenceIJLi0EEEENSU_IJLi2ELi1EEEENSU_IJLi3EEEENSU_IJLi5EEEENSU_IJLi4EEEENSU_IJLi6EEEENSU_IJLi7EEEENSU_IJLi9ELi8EEEENSU_IJLi10EEEEEEENS5_IJNSU_IJLi1ELi2ELi3EEEENSU_IJLi4ELi5EEEES10_NSU_IJLi7ELi8EEEENSU_IJLi9EEEES13_NSU_IJLi11EEEENSU_IJLi12EEEENSU_IJLi13EEEEEEENSU_IJLi11ELi12ELi13EEEENS7_IlLl32768EEEEENS4_INS5_IJNSL_INS5_IJNS7_IiLi4EEESD_NS7_IiLi2EEENS7_IiLi32EEEEEELb0EEEEEENS5_IJSV_EEENS5_IJNSU_IJLi1ELi2ELi3ELi4EEEEEEES1N_NS7_IlLl256EEEEENS4_INS5_IJSF_SI_SK_SN_SO_SK_SP_SS_SK_NSQ_INS5_IJS8_SA_EEEEENSL_INS5_IJS8_S1H_SA_EEELb0EEEEEENS5_IJSV_SW_SX_SY_SZ_S10_S11_S12_S13_NSU_IJLi11ELi13EEEES1A_EEENS5_IJS15_S16_S10_S17_S18_S13_S19_S1A_S1B_NSU_IJLi14EEEENSU_IJLi15ELi16ELi17EEEEEEENSU_IJLi15ELi16ELi17ELi14EEEES1E_EENS4_INS5_IJS1K_NSQ_INS5_IJS1G_S1H_EEEEENSL_INS5_IJS1G_S1G_SA_EEELb0EEEEEENS5_IJSV_NSU_IJLi1ELi3EEEENSU_IJLi2EEEEEEENS5_IJS1N_SY_NSU_IJLi6ELi7ELi8EEEEEEENSU_IJLi6ELi7ELi8ELi5EEEES1P_EELi16ELi32ELi256ELi256ELi128ELi16ELi16ELi8ELi4ELi32ELb0EE3RunILb1ELNS_10TailNumberE0ENS4_INS5_IJNS6_INS5_IJiiEEENS5_IJiSD_EEELb0EEENSL_IS2I_Lb0EEENSJ_IiEEEEENS5_IJSV_S29_NSU_IJLi1EEEEEEENS5_IJNSU_IJLi1ELi2EEEENSU_IJLi3ELi4EEEESY_EEENSU_IJLi3ELi5ELi4EEEElEES1F_NS_35ThreadGroupTensorSliceTransfer_v4r1INS_15ThisThreadBlockILi256EEENS_16tensor_operation12element_wise11PassThroughES30_LNS_25InMemoryDataOperationEnumE0ENSU_IJLi8ELi256ELi16EEEENSU_IJLi8ELi32ELi1EEEENSU_IJLi1ELi0ELi2EEEES2_S2_RKS2U_KS1F_S34_NSU_IJLi0ELi1ELi2EEEELi2ELi2ELi16ELi16ELi1ELi1ELb0ELb1ELi2EiEENS_13DynamicBufferILNS_16AddressSpaceEnumE1EKS2_lLb1ELNS_22AmdBufferCoherenceEnumE0EiEENS5_IJNS3A_ILS3B_2ES2_S1E_Lb1ELS3D_0EiEES3F_EEENS5_IJiiiEEENS4_INS5_IJNS6_INS5_IJiiiiEEENS5_IJiiiSD_EEELb0EEEEEES1M_S1O_S1N_lEENS_32ThreadwiseTensorSliceTransfer_v2IS3_S3_RKS3M_KS1Q_NSU_IJLi4ELi1ELi2ELi32EEEENSU_IJLi1ELi2ELi0ELi3EEEELi3ELi32ELi0ELb1ELb0ELb0EEENS3A_ILS3B_1EKS3_lLb1ELS3D_0EiEENS5_IJNS_12StaticBufferILS3B_4ES3_Li256ELb1EEES3X_EEES3I_NS_25StaticBufferTupleOfVectorILS3B_4EfLi32ELi8ELb1ELb0EEEEEvRKT1_RKT2_RT3_RKT4_RT5_RKT6_RKT7_RT8_RKT9_RT10_RKT11_RT12_i.num_agpr, max(0, .L_ZNK2ck44ThreadwiseTensorSliceTransfer_StaticToStaticINS_7pk_i4_tENS_9f8_fnuz_tEKNS_16TensorDescriptorINS_5TupleIJNS_7UnMergeINS4_IJNS_17integral_constantIiLi4EEENS6_IiLi1EEENS6_IiLi2EEENS6_IiLi32EEEEEELb0EEEEEENS4_IJNS_8SequenceIJLi0EEEEEEENS4_IJNSE_IJLi1ELi2ELi3ELi4EEEEEEESH_NS6_IlLl256EEEEESL_NS_16tensor_operation12element_wise11PassThroughENSE_IJLi4ELi1ELi2ELi32EEEENSE_IJLi1ELi2ELi0ELi3EEEELi3ELi32ELb0EE3RunINS4_IJNS6_IiLi0EEEST_ST_ST_EEESU_NS_12StaticBufferILNS_16AddressSpaceEnumE4ES1_Li256ELb1EEENSV_ILSW_4ES2_Li256ELb1EEEEEvRSL_RKT_RKT1_SZ_RKT0_RT2_.num_agpr)
	.set .L_ZNK2ck52BlockwiseGemmXdlops_pipeline_bpreshuffle_bdequant_v3ILNS_26BlockGemmPipelineSchedulerE0ELi256ENS_9f8_fnuz_tENS_7pk_i4_tES2_fNS_16TensorDescriptorINS_5TupleIJNS_5EmbedINS5_IJNS_17integral_constantIiLi8EEENS7_IiLi256EEENS7_IiLi16EEEEEENS5_IJSA_NS7_IiLi128EEENS7_IiLi1EEEEEELb0EEENS_3XorINS5_IJS9_S8_EEELb1EEENS_11PassThroughISA_EENS_7UnMergeINS5_IJS8_SD_EEELb0EEENSJ_IS9_EESK_NSJ_IS8_EENS_21Merge_v3_division_modINS5_IJS9_SD_EEEEESK_EEENS5_IJNS_8SequenceIJLi0EEEENSU_IJLi2ELi1EEEENSU_IJLi3EEEENSU_IJLi5EEEENSU_IJLi4EEEENSU_IJLi6EEEENSU_IJLi7EEEENSU_IJLi9ELi8EEEENSU_IJLi10EEEEEEENS5_IJNSU_IJLi1ELi2ELi3EEEENSU_IJLi4ELi5EEEES10_NSU_IJLi7ELi8EEEENSU_IJLi9EEEES13_NSU_IJLi11EEEENSU_IJLi12EEEENSU_IJLi13EEEEEEENSU_IJLi11ELi12ELi13EEEENS7_IlLl32768EEEEENS4_INS5_IJNSL_INS5_IJNS7_IiLi4EEESD_NS7_IiLi2EEENS7_IiLi32EEEEEELb0EEEEEENS5_IJSV_EEENS5_IJNSU_IJLi1ELi2ELi3ELi4EEEEEEES1N_NS7_IlLl256EEEEENS4_INS5_IJSF_SI_SK_SN_SO_SK_SP_SS_SK_NSQ_INS5_IJS8_SA_EEEEENSL_INS5_IJS8_S1H_SA_EEELb0EEEEEENS5_IJSV_SW_SX_SY_SZ_S10_S11_S12_S13_NSU_IJLi11ELi13EEEES1A_EEENS5_IJS15_S16_S10_S17_S18_S13_S19_S1A_S1B_NSU_IJLi14EEEENSU_IJLi15ELi16ELi17EEEEEEENSU_IJLi15ELi16ELi17ELi14EEEES1E_EENS4_INS5_IJS1K_NSQ_INS5_IJS1G_S1H_EEEEENSL_INS5_IJS1G_S1G_SA_EEELb0EEEEEENS5_IJSV_NSU_IJLi1ELi3EEEENSU_IJLi2EEEEEEENS5_IJS1N_SY_NSU_IJLi6ELi7ELi8EEEEEEENSU_IJLi6ELi7ELi8ELi5EEEES1P_EELi16ELi32ELi256ELi256ELi128ELi16ELi16ELi8ELi4ELi32ELb0EE3RunILb1ELNS_10TailNumberE0ENS4_INS5_IJNS6_INS5_IJiiEEENS5_IJiSD_EEELb0EEENSL_IS2I_Lb0EEENSJ_IiEEEEENS5_IJSV_S29_NSU_IJLi1EEEEEEENS5_IJNSU_IJLi1ELi2EEEENSU_IJLi3ELi4EEEESY_EEENSU_IJLi3ELi5ELi4EEEElEES1F_NS_35ThreadGroupTensorSliceTransfer_v4r1INS_15ThisThreadBlockILi256EEENS_16tensor_operation12element_wise11PassThroughES30_LNS_25InMemoryDataOperationEnumE0ENSU_IJLi8ELi256ELi16EEEENSU_IJLi8ELi32ELi1EEEENSU_IJLi1ELi0ELi2EEEES2_S2_RKS2U_KS1F_S34_NSU_IJLi0ELi1ELi2EEEELi2ELi2ELi16ELi16ELi1ELi1ELb0ELb1ELi2EiEENS_13DynamicBufferILNS_16AddressSpaceEnumE1EKS2_lLb1ELNS_22AmdBufferCoherenceEnumE0EiEENS5_IJNS3A_ILS3B_2ES2_S1E_Lb1ELS3D_0EiEES3F_EEENS5_IJiiiEEENS4_INS5_IJNS6_INS5_IJiiiiEEENS5_IJiiiSD_EEELb0EEEEEES1M_S1O_S1N_lEENS_32ThreadwiseTensorSliceTransfer_v2IS3_S3_RKS3M_KS1Q_NSU_IJLi4ELi1ELi2ELi32EEEENSU_IJLi1ELi2ELi0ELi3EEEELi3ELi32ELi0ELb1ELb0ELb0EEENS3A_ILS3B_1EKS3_lLb1ELS3D_0EiEENS5_IJNS_12StaticBufferILS3B_4ES3_Li256ELb1EEES3X_EEES3I_NS_25StaticBufferTupleOfVectorILS3B_4EfLi32ELi8ELb1ELb0EEEEEvRKT1_RKT2_RT3_RKT4_RT5_RKT6_RKT7_RT8_RKT9_RT10_RKT11_RT12_i.numbered_sgpr, max(34, .L_ZNK2ck44ThreadwiseTensorSliceTransfer_StaticToStaticINS_7pk_i4_tENS_9f8_fnuz_tEKNS_16TensorDescriptorINS_5TupleIJNS_7UnMergeINS4_IJNS_17integral_constantIiLi4EEENS6_IiLi1EEENS6_IiLi2EEENS6_IiLi32EEEEEELb0EEEEEENS4_IJNS_8SequenceIJLi0EEEEEEENS4_IJNSE_IJLi1ELi2ELi3ELi4EEEEEEESH_NS6_IlLl256EEEEESL_NS_16tensor_operation12element_wise11PassThroughENSE_IJLi4ELi1ELi2ELi32EEEENSE_IJLi1ELi2ELi0ELi3EEEELi3ELi32ELb0EE3RunINS4_IJNS6_IiLi0EEEST_ST_ST_EEESU_NS_12StaticBufferILNS_16AddressSpaceEnumE4ES1_Li256ELb1EEENSV_ILSW_4ES2_Li256ELb1EEEEEvRSL_RKT_RKT1_SZ_RKT0_RT2_.numbered_sgpr)
	.set .L_ZNK2ck52BlockwiseGemmXdlops_pipeline_bpreshuffle_bdequant_v3ILNS_26BlockGemmPipelineSchedulerE0ELi256ENS_9f8_fnuz_tENS_7pk_i4_tES2_fNS_16TensorDescriptorINS_5TupleIJNS_5EmbedINS5_IJNS_17integral_constantIiLi8EEENS7_IiLi256EEENS7_IiLi16EEEEEENS5_IJSA_NS7_IiLi128EEENS7_IiLi1EEEEEELb0EEENS_3XorINS5_IJS9_S8_EEELb1EEENS_11PassThroughISA_EENS_7UnMergeINS5_IJS8_SD_EEELb0EEENSJ_IS9_EESK_NSJ_IS8_EENS_21Merge_v3_division_modINS5_IJS9_SD_EEEEESK_EEENS5_IJNS_8SequenceIJLi0EEEENSU_IJLi2ELi1EEEENSU_IJLi3EEEENSU_IJLi5EEEENSU_IJLi4EEEENSU_IJLi6EEEENSU_IJLi7EEEENSU_IJLi9ELi8EEEENSU_IJLi10EEEEEEENS5_IJNSU_IJLi1ELi2ELi3EEEENSU_IJLi4ELi5EEEES10_NSU_IJLi7ELi8EEEENSU_IJLi9EEEES13_NSU_IJLi11EEEENSU_IJLi12EEEENSU_IJLi13EEEEEEENSU_IJLi11ELi12ELi13EEEENS7_IlLl32768EEEEENS4_INS5_IJNSL_INS5_IJNS7_IiLi4EEESD_NS7_IiLi2EEENS7_IiLi32EEEEEELb0EEEEEENS5_IJSV_EEENS5_IJNSU_IJLi1ELi2ELi3ELi4EEEEEEES1N_NS7_IlLl256EEEEENS4_INS5_IJSF_SI_SK_SN_SO_SK_SP_SS_SK_NSQ_INS5_IJS8_SA_EEEEENSL_INS5_IJS8_S1H_SA_EEELb0EEEEEENS5_IJSV_SW_SX_SY_SZ_S10_S11_S12_S13_NSU_IJLi11ELi13EEEES1A_EEENS5_IJS15_S16_S10_S17_S18_S13_S19_S1A_S1B_NSU_IJLi14EEEENSU_IJLi15ELi16ELi17EEEEEEENSU_IJLi15ELi16ELi17ELi14EEEES1E_EENS4_INS5_IJS1K_NSQ_INS5_IJS1G_S1H_EEEEENSL_INS5_IJS1G_S1G_SA_EEELb0EEEEEENS5_IJSV_NSU_IJLi1ELi3EEEENSU_IJLi2EEEEEEENS5_IJS1N_SY_NSU_IJLi6ELi7ELi8EEEEEEENSU_IJLi6ELi7ELi8ELi5EEEES1P_EELi16ELi32ELi256ELi256ELi128ELi16ELi16ELi8ELi4ELi32ELb0EE3RunILb1ELNS_10TailNumberE0ENS4_INS5_IJNS6_INS5_IJiiEEENS5_IJiSD_EEELb0EEENSL_IS2I_Lb0EEENSJ_IiEEEEENS5_IJSV_S29_NSU_IJLi1EEEEEEENS5_IJNSU_IJLi1ELi2EEEENSU_IJLi3ELi4EEEESY_EEENSU_IJLi3ELi5ELi4EEEElEES1F_NS_35ThreadGroupTensorSliceTransfer_v4r1INS_15ThisThreadBlockILi256EEENS_16tensor_operation12element_wise11PassThroughES30_LNS_25InMemoryDataOperationEnumE0ENSU_IJLi8ELi256ELi16EEEENSU_IJLi8ELi32ELi1EEEENSU_IJLi1ELi0ELi2EEEES2_S2_RKS2U_KS1F_S34_NSU_IJLi0ELi1ELi2EEEELi2ELi2ELi16ELi16ELi1ELi1ELb0ELb1ELi2EiEENS_13DynamicBufferILNS_16AddressSpaceEnumE1EKS2_lLb1ELNS_22AmdBufferCoherenceEnumE0EiEENS5_IJNS3A_ILS3B_2ES2_S1E_Lb1ELS3D_0EiEES3F_EEENS5_IJiiiEEENS4_INS5_IJNS6_INS5_IJiiiiEEENS5_IJiiiSD_EEELb0EEEEEES1M_S1O_S1N_lEENS_32ThreadwiseTensorSliceTransfer_v2IS3_S3_RKS3M_KS1Q_NSU_IJLi4ELi1ELi2ELi32EEEENSU_IJLi1ELi2ELi0ELi3EEEELi3ELi32ELi0ELb1ELb0ELb0EEENS3A_ILS3B_1EKS3_lLb1ELS3D_0EiEENS5_IJNS_12StaticBufferILS3B_4ES3_Li256ELb1EEES3X_EEES3I_NS_25StaticBufferTupleOfVectorILS3B_4EfLi32ELi8ELb1ELb0EEEEEvRKT1_RKT2_RT3_RKT4_RT5_RKT6_RKT7_RT8_RKT9_RT10_RKT11_RT12_i.num_named_barrier, max(0, .L_ZNK2ck44ThreadwiseTensorSliceTransfer_StaticToStaticINS_7pk_i4_tENS_9f8_fnuz_tEKNS_16TensorDescriptorINS_5TupleIJNS_7UnMergeINS4_IJNS_17integral_constantIiLi4EEENS6_IiLi1EEENS6_IiLi2EEENS6_IiLi32EEEEEELb0EEEEEENS4_IJNS_8SequenceIJLi0EEEEEEENS4_IJNSE_IJLi1ELi2ELi3ELi4EEEEEEESH_NS6_IlLl256EEEEESL_NS_16tensor_operation12element_wise11PassThroughENSE_IJLi4ELi1ELi2ELi32EEEENSE_IJLi1ELi2ELi0ELi3EEEELi3ELi32ELb0EE3RunINS4_IJNS6_IiLi0EEEST_ST_ST_EEESU_NS_12StaticBufferILNS_16AddressSpaceEnumE4ES1_Li256ELb1EEENSV_ILSW_4ES2_Li256ELb1EEEEEvRSL_RKT_RKT1_SZ_RKT0_RT2_.num_named_barrier)
	.set .L_ZNK2ck52BlockwiseGemmXdlops_pipeline_bpreshuffle_bdequant_v3ILNS_26BlockGemmPipelineSchedulerE0ELi256ENS_9f8_fnuz_tENS_7pk_i4_tES2_fNS_16TensorDescriptorINS_5TupleIJNS_5EmbedINS5_IJNS_17integral_constantIiLi8EEENS7_IiLi256EEENS7_IiLi16EEEEEENS5_IJSA_NS7_IiLi128EEENS7_IiLi1EEEEEELb0EEENS_3XorINS5_IJS9_S8_EEELb1EEENS_11PassThroughISA_EENS_7UnMergeINS5_IJS8_SD_EEELb0EEENSJ_IS9_EESK_NSJ_IS8_EENS_21Merge_v3_division_modINS5_IJS9_SD_EEEEESK_EEENS5_IJNS_8SequenceIJLi0EEEENSU_IJLi2ELi1EEEENSU_IJLi3EEEENSU_IJLi5EEEENSU_IJLi4EEEENSU_IJLi6EEEENSU_IJLi7EEEENSU_IJLi9ELi8EEEENSU_IJLi10EEEEEEENS5_IJNSU_IJLi1ELi2ELi3EEEENSU_IJLi4ELi5EEEES10_NSU_IJLi7ELi8EEEENSU_IJLi9EEEES13_NSU_IJLi11EEEENSU_IJLi12EEEENSU_IJLi13EEEEEEENSU_IJLi11ELi12ELi13EEEENS7_IlLl32768EEEEENS4_INS5_IJNSL_INS5_IJNS7_IiLi4EEESD_NS7_IiLi2EEENS7_IiLi32EEEEEELb0EEEEEENS5_IJSV_EEENS5_IJNSU_IJLi1ELi2ELi3ELi4EEEEEEES1N_NS7_IlLl256EEEEENS4_INS5_IJSF_SI_SK_SN_SO_SK_SP_SS_SK_NSQ_INS5_IJS8_SA_EEEEENSL_INS5_IJS8_S1H_SA_EEELb0EEEEEENS5_IJSV_SW_SX_SY_SZ_S10_S11_S12_S13_NSU_IJLi11ELi13EEEES1A_EEENS5_IJS15_S16_S10_S17_S18_S13_S19_S1A_S1B_NSU_IJLi14EEEENSU_IJLi15ELi16ELi17EEEEEEENSU_IJLi15ELi16ELi17ELi14EEEES1E_EENS4_INS5_IJS1K_NSQ_INS5_IJS1G_S1H_EEEEENSL_INS5_IJS1G_S1G_SA_EEELb0EEEEEENS5_IJSV_NSU_IJLi1ELi3EEEENSU_IJLi2EEEEEEENS5_IJS1N_SY_NSU_IJLi6ELi7ELi8EEEEEEENSU_IJLi6ELi7ELi8ELi5EEEES1P_EELi16ELi32ELi256ELi256ELi128ELi16ELi16ELi8ELi4ELi32ELb0EE3RunILb1ELNS_10TailNumberE0ENS4_INS5_IJNS6_INS5_IJiiEEENS5_IJiSD_EEELb0EEENSL_IS2I_Lb0EEENSJ_IiEEEEENS5_IJSV_S29_NSU_IJLi1EEEEEEENS5_IJNSU_IJLi1ELi2EEEENSU_IJLi3ELi4EEEESY_EEENSU_IJLi3ELi5ELi4EEEElEES1F_NS_35ThreadGroupTensorSliceTransfer_v4r1INS_15ThisThreadBlockILi256EEENS_16tensor_operation12element_wise11PassThroughES30_LNS_25InMemoryDataOperationEnumE0ENSU_IJLi8ELi256ELi16EEEENSU_IJLi8ELi32ELi1EEEENSU_IJLi1ELi0ELi2EEEES2_S2_RKS2U_KS1F_S34_NSU_IJLi0ELi1ELi2EEEELi2ELi2ELi16ELi16ELi1ELi1ELb0ELb1ELi2EiEENS_13DynamicBufferILNS_16AddressSpaceEnumE1EKS2_lLb1ELNS_22AmdBufferCoherenceEnumE0EiEENS5_IJNS3A_ILS3B_2ES2_S1E_Lb1ELS3D_0EiEES3F_EEENS5_IJiiiEEENS4_INS5_IJNS6_INS5_IJiiiiEEENS5_IJiiiSD_EEELb0EEEEEES1M_S1O_S1N_lEENS_32ThreadwiseTensorSliceTransfer_v2IS3_S3_RKS3M_KS1Q_NSU_IJLi4ELi1ELi2ELi32EEEENSU_IJLi1ELi2ELi0ELi3EEEELi3ELi32ELi0ELb1ELb0ELb0EEENS3A_ILS3B_1EKS3_lLb1ELS3D_0EiEENS5_IJNS_12StaticBufferILS3B_4ES3_Li256ELb1EEES3X_EEES3I_NS_25StaticBufferTupleOfVectorILS3B_4EfLi32ELi8ELb1ELb0EEEEEvRKT1_RKT2_RT3_RKT4_RT5_RKT6_RKT7_RT8_RKT9_RT10_RKT11_RT12_i.private_seg_size, 1040+max(.L_ZNK2ck44ThreadwiseTensorSliceTransfer_StaticToStaticINS_7pk_i4_tENS_9f8_fnuz_tEKNS_16TensorDescriptorINS_5TupleIJNS_7UnMergeINS4_IJNS_17integral_constantIiLi4EEENS6_IiLi1EEENS6_IiLi2EEENS6_IiLi32EEEEEELb0EEEEEENS4_IJNS_8SequenceIJLi0EEEEEEENS4_IJNSE_IJLi1ELi2ELi3ELi4EEEEEEESH_NS6_IlLl256EEEEESL_NS_16tensor_operation12element_wise11PassThroughENSE_IJLi4ELi1ELi2ELi32EEEENSE_IJLi1ELi2ELi0ELi3EEEELi3ELi32ELb0EE3RunINS4_IJNS6_IiLi0EEEST_ST_ST_EEESU_NS_12StaticBufferILNS_16AddressSpaceEnumE4ES1_Li256ELb1EEENSV_ILSW_4ES2_Li256ELb1EEEEEvRSL_RKT_RKT1_SZ_RKT0_RT2_.private_seg_size)
	.set .L_ZNK2ck52BlockwiseGemmXdlops_pipeline_bpreshuffle_bdequant_v3ILNS_26BlockGemmPipelineSchedulerE0ELi256ENS_9f8_fnuz_tENS_7pk_i4_tES2_fNS_16TensorDescriptorINS_5TupleIJNS_5EmbedINS5_IJNS_17integral_constantIiLi8EEENS7_IiLi256EEENS7_IiLi16EEEEEENS5_IJSA_NS7_IiLi128EEENS7_IiLi1EEEEEELb0EEENS_3XorINS5_IJS9_S8_EEELb1EEENS_11PassThroughISA_EENS_7UnMergeINS5_IJS8_SD_EEELb0EEENSJ_IS9_EESK_NSJ_IS8_EENS_21Merge_v3_division_modINS5_IJS9_SD_EEEEESK_EEENS5_IJNS_8SequenceIJLi0EEEENSU_IJLi2ELi1EEEENSU_IJLi3EEEENSU_IJLi5EEEENSU_IJLi4EEEENSU_IJLi6EEEENSU_IJLi7EEEENSU_IJLi9ELi8EEEENSU_IJLi10EEEEEEENS5_IJNSU_IJLi1ELi2ELi3EEEENSU_IJLi4ELi5EEEES10_NSU_IJLi7ELi8EEEENSU_IJLi9EEEES13_NSU_IJLi11EEEENSU_IJLi12EEEENSU_IJLi13EEEEEEENSU_IJLi11ELi12ELi13EEEENS7_IlLl32768EEEEENS4_INS5_IJNSL_INS5_IJNS7_IiLi4EEESD_NS7_IiLi2EEENS7_IiLi32EEEEEELb0EEEEEENS5_IJSV_EEENS5_IJNSU_IJLi1ELi2ELi3ELi4EEEEEEES1N_NS7_IlLl256EEEEENS4_INS5_IJSF_SI_SK_SN_SO_SK_SP_SS_SK_NSQ_INS5_IJS8_SA_EEEEENSL_INS5_IJS8_S1H_SA_EEELb0EEEEEENS5_IJSV_SW_SX_SY_SZ_S10_S11_S12_S13_NSU_IJLi11ELi13EEEES1A_EEENS5_IJS15_S16_S10_S17_S18_S13_S19_S1A_S1B_NSU_IJLi14EEEENSU_IJLi15ELi16ELi17EEEEEEENSU_IJLi15ELi16ELi17ELi14EEEES1E_EENS4_INS5_IJS1K_NSQ_INS5_IJS1G_S1H_EEEEENSL_INS5_IJS1G_S1G_SA_EEELb0EEEEEENS5_IJSV_NSU_IJLi1ELi3EEEENSU_IJLi2EEEEEEENS5_IJS1N_SY_NSU_IJLi6ELi7ELi8EEEEEEENSU_IJLi6ELi7ELi8ELi5EEEES1P_EELi16ELi32ELi256ELi256ELi128ELi16ELi16ELi8ELi4ELi32ELb0EE3RunILb1ELNS_10TailNumberE0ENS4_INS5_IJNS6_INS5_IJiiEEENS5_IJiSD_EEELb0EEENSL_IS2I_Lb0EEENSJ_IiEEEEENS5_IJSV_S29_NSU_IJLi1EEEEEEENS5_IJNSU_IJLi1ELi2EEEENSU_IJLi3ELi4EEEESY_EEENSU_IJLi3ELi5ELi4EEEElEES1F_NS_35ThreadGroupTensorSliceTransfer_v4r1INS_15ThisThreadBlockILi256EEENS_16tensor_operation12element_wise11PassThroughES30_LNS_25InMemoryDataOperationEnumE0ENSU_IJLi8ELi256ELi16EEEENSU_IJLi8ELi32ELi1EEEENSU_IJLi1ELi0ELi2EEEES2_S2_RKS2U_KS1F_S34_NSU_IJLi0ELi1ELi2EEEELi2ELi2ELi16ELi16ELi1ELi1ELb0ELb1ELi2EiEENS_13DynamicBufferILNS_16AddressSpaceEnumE1EKS2_lLb1ELNS_22AmdBufferCoherenceEnumE0EiEENS5_IJNS3A_ILS3B_2ES2_S1E_Lb1ELS3D_0EiEES3F_EEENS5_IJiiiEEENS4_INS5_IJNS6_INS5_IJiiiiEEENS5_IJiiiSD_EEELb0EEEEEES1M_S1O_S1N_lEENS_32ThreadwiseTensorSliceTransfer_v2IS3_S3_RKS3M_KS1Q_NSU_IJLi4ELi1ELi2ELi32EEEENSU_IJLi1ELi2ELi0ELi3EEEELi3ELi32ELi0ELb1ELb0ELb0EEENS3A_ILS3B_1EKS3_lLb1ELS3D_0EiEENS5_IJNS_12StaticBufferILS3B_4ES3_Li256ELb1EEES3X_EEES3I_NS_25StaticBufferTupleOfVectorILS3B_4EfLi32ELi8ELb1ELb0EEEEEvRKT1_RKT2_RT3_RKT4_RT5_RKT6_RKT7_RT8_RKT9_RT10_RKT11_RT12_i.uses_vcc, or(1, .L_ZNK2ck44ThreadwiseTensorSliceTransfer_StaticToStaticINS_7pk_i4_tENS_9f8_fnuz_tEKNS_16TensorDescriptorINS_5TupleIJNS_7UnMergeINS4_IJNS_17integral_constantIiLi4EEENS6_IiLi1EEENS6_IiLi2EEENS6_IiLi32EEEEEELb0EEEEEENS4_IJNS_8SequenceIJLi0EEEEEEENS4_IJNSE_IJLi1ELi2ELi3ELi4EEEEEEESH_NS6_IlLl256EEEEESL_NS_16tensor_operation12element_wise11PassThroughENSE_IJLi4ELi1ELi2ELi32EEEENSE_IJLi1ELi2ELi0ELi3EEEELi3ELi32ELb0EE3RunINS4_IJNS6_IiLi0EEEST_ST_ST_EEESU_NS_12StaticBufferILNS_16AddressSpaceEnumE4ES1_Li256ELb1EEENSV_ILSW_4ES2_Li256ELb1EEEEEvRSL_RKT_RKT1_SZ_RKT0_RT2_.uses_vcc)
	.set .L_ZNK2ck52BlockwiseGemmXdlops_pipeline_bpreshuffle_bdequant_v3ILNS_26BlockGemmPipelineSchedulerE0ELi256ENS_9f8_fnuz_tENS_7pk_i4_tES2_fNS_16TensorDescriptorINS_5TupleIJNS_5EmbedINS5_IJNS_17integral_constantIiLi8EEENS7_IiLi256EEENS7_IiLi16EEEEEENS5_IJSA_NS7_IiLi128EEENS7_IiLi1EEEEEELb0EEENS_3XorINS5_IJS9_S8_EEELb1EEENS_11PassThroughISA_EENS_7UnMergeINS5_IJS8_SD_EEELb0EEENSJ_IS9_EESK_NSJ_IS8_EENS_21Merge_v3_division_modINS5_IJS9_SD_EEEEESK_EEENS5_IJNS_8SequenceIJLi0EEEENSU_IJLi2ELi1EEEENSU_IJLi3EEEENSU_IJLi5EEEENSU_IJLi4EEEENSU_IJLi6EEEENSU_IJLi7EEEENSU_IJLi9ELi8EEEENSU_IJLi10EEEEEEENS5_IJNSU_IJLi1ELi2ELi3EEEENSU_IJLi4ELi5EEEES10_NSU_IJLi7ELi8EEEENSU_IJLi9EEEES13_NSU_IJLi11EEEENSU_IJLi12EEEENSU_IJLi13EEEEEEENSU_IJLi11ELi12ELi13EEEENS7_IlLl32768EEEEENS4_INS5_IJNSL_INS5_IJNS7_IiLi4EEESD_NS7_IiLi2EEENS7_IiLi32EEEEEELb0EEEEEENS5_IJSV_EEENS5_IJNSU_IJLi1ELi2ELi3ELi4EEEEEEES1N_NS7_IlLl256EEEEENS4_INS5_IJSF_SI_SK_SN_SO_SK_SP_SS_SK_NSQ_INS5_IJS8_SA_EEEEENSL_INS5_IJS8_S1H_SA_EEELb0EEEEEENS5_IJSV_SW_SX_SY_SZ_S10_S11_S12_S13_NSU_IJLi11ELi13EEEES1A_EEENS5_IJS15_S16_S10_S17_S18_S13_S19_S1A_S1B_NSU_IJLi14EEEENSU_IJLi15ELi16ELi17EEEEEEENSU_IJLi15ELi16ELi17ELi14EEEES1E_EENS4_INS5_IJS1K_NSQ_INS5_IJS1G_S1H_EEEEENSL_INS5_IJS1G_S1G_SA_EEELb0EEEEEENS5_IJSV_NSU_IJLi1ELi3EEEENSU_IJLi2EEEEEEENS5_IJS1N_SY_NSU_IJLi6ELi7ELi8EEEEEEENSU_IJLi6ELi7ELi8ELi5EEEES1P_EELi16ELi32ELi256ELi256ELi128ELi16ELi16ELi8ELi4ELi32ELb0EE3RunILb1ELNS_10TailNumberE0ENS4_INS5_IJNS6_INS5_IJiiEEENS5_IJiSD_EEELb0EEENSL_IS2I_Lb0EEENSJ_IiEEEEENS5_IJSV_S29_NSU_IJLi1EEEEEEENS5_IJNSU_IJLi1ELi2EEEENSU_IJLi3ELi4EEEESY_EEENSU_IJLi3ELi5ELi4EEEElEES1F_NS_35ThreadGroupTensorSliceTransfer_v4r1INS_15ThisThreadBlockILi256EEENS_16tensor_operation12element_wise11PassThroughES30_LNS_25InMemoryDataOperationEnumE0ENSU_IJLi8ELi256ELi16EEEENSU_IJLi8ELi32ELi1EEEENSU_IJLi1ELi0ELi2EEEES2_S2_RKS2U_KS1F_S34_NSU_IJLi0ELi1ELi2EEEELi2ELi2ELi16ELi16ELi1ELi1ELb0ELb1ELi2EiEENS_13DynamicBufferILNS_16AddressSpaceEnumE1EKS2_lLb1ELNS_22AmdBufferCoherenceEnumE0EiEENS5_IJNS3A_ILS3B_2ES2_S1E_Lb1ELS3D_0EiEES3F_EEENS5_IJiiiEEENS4_INS5_IJNS6_INS5_IJiiiiEEENS5_IJiiiSD_EEELb0EEEEEES1M_S1O_S1N_lEENS_32ThreadwiseTensorSliceTransfer_v2IS3_S3_RKS3M_KS1Q_NSU_IJLi4ELi1ELi2ELi32EEEENSU_IJLi1ELi2ELi0ELi3EEEELi3ELi32ELi0ELb1ELb0ELb0EEENS3A_ILS3B_1EKS3_lLb1ELS3D_0EiEENS5_IJNS_12StaticBufferILS3B_4ES3_Li256ELb1EEES3X_EEES3I_NS_25StaticBufferTupleOfVectorILS3B_4EfLi32ELi8ELb1ELb0EEEEEvRKT1_RKT2_RT3_RKT4_RT5_RKT6_RKT7_RT8_RKT9_RT10_RKT11_RT12_i.uses_flat_scratch, or(1, .L_ZNK2ck44ThreadwiseTensorSliceTransfer_StaticToStaticINS_7pk_i4_tENS_9f8_fnuz_tEKNS_16TensorDescriptorINS_5TupleIJNS_7UnMergeINS4_IJNS_17integral_constantIiLi4EEENS6_IiLi1EEENS6_IiLi2EEENS6_IiLi32EEEEEELb0EEEEEENS4_IJNS_8SequenceIJLi0EEEEEEENS4_IJNSE_IJLi1ELi2ELi3ELi4EEEEEEESH_NS6_IlLl256EEEEESL_NS_16tensor_operation12element_wise11PassThroughENSE_IJLi4ELi1ELi2ELi32EEEENSE_IJLi1ELi2ELi0ELi3EEEELi3ELi32ELb0EE3RunINS4_IJNS6_IiLi0EEEST_ST_ST_EEESU_NS_12StaticBufferILNS_16AddressSpaceEnumE4ES1_Li256ELb1EEENSV_ILSW_4ES2_Li256ELb1EEEEEvRSL_RKT_RKT1_SZ_RKT0_RT2_.uses_flat_scratch)
	.set .L_ZNK2ck52BlockwiseGemmXdlops_pipeline_bpreshuffle_bdequant_v3ILNS_26BlockGemmPipelineSchedulerE0ELi256ENS_9f8_fnuz_tENS_7pk_i4_tES2_fNS_16TensorDescriptorINS_5TupleIJNS_5EmbedINS5_IJNS_17integral_constantIiLi8EEENS7_IiLi256EEENS7_IiLi16EEEEEENS5_IJSA_NS7_IiLi128EEENS7_IiLi1EEEEEELb0EEENS_3XorINS5_IJS9_S8_EEELb1EEENS_11PassThroughISA_EENS_7UnMergeINS5_IJS8_SD_EEELb0EEENSJ_IS9_EESK_NSJ_IS8_EENS_21Merge_v3_division_modINS5_IJS9_SD_EEEEESK_EEENS5_IJNS_8SequenceIJLi0EEEENSU_IJLi2ELi1EEEENSU_IJLi3EEEENSU_IJLi5EEEENSU_IJLi4EEEENSU_IJLi6EEEENSU_IJLi7EEEENSU_IJLi9ELi8EEEENSU_IJLi10EEEEEEENS5_IJNSU_IJLi1ELi2ELi3EEEENSU_IJLi4ELi5EEEES10_NSU_IJLi7ELi8EEEENSU_IJLi9EEEES13_NSU_IJLi11EEEENSU_IJLi12EEEENSU_IJLi13EEEEEEENSU_IJLi11ELi12ELi13EEEENS7_IlLl32768EEEEENS4_INS5_IJNSL_INS5_IJNS7_IiLi4EEESD_NS7_IiLi2EEENS7_IiLi32EEEEEELb0EEEEEENS5_IJSV_EEENS5_IJNSU_IJLi1ELi2ELi3ELi4EEEEEEES1N_NS7_IlLl256EEEEENS4_INS5_IJSF_SI_SK_SN_SO_SK_SP_SS_SK_NSQ_INS5_IJS8_SA_EEEEENSL_INS5_IJS8_S1H_SA_EEELb0EEEEEENS5_IJSV_SW_SX_SY_SZ_S10_S11_S12_S13_NSU_IJLi11ELi13EEEES1A_EEENS5_IJS15_S16_S10_S17_S18_S13_S19_S1A_S1B_NSU_IJLi14EEEENSU_IJLi15ELi16ELi17EEEEEEENSU_IJLi15ELi16ELi17ELi14EEEES1E_EENS4_INS5_IJS1K_NSQ_INS5_IJS1G_S1H_EEEEENSL_INS5_IJS1G_S1G_SA_EEELb0EEEEEENS5_IJSV_NSU_IJLi1ELi3EEEENSU_IJLi2EEEEEEENS5_IJS1N_SY_NSU_IJLi6ELi7ELi8EEEEEEENSU_IJLi6ELi7ELi8ELi5EEEES1P_EELi16ELi32ELi256ELi256ELi128ELi16ELi16ELi8ELi4ELi32ELb0EE3RunILb1ELNS_10TailNumberE0ENS4_INS5_IJNS6_INS5_IJiiEEENS5_IJiSD_EEELb0EEENSL_IS2I_Lb0EEENSJ_IiEEEEENS5_IJSV_S29_NSU_IJLi1EEEEEEENS5_IJNSU_IJLi1ELi2EEEENSU_IJLi3ELi4EEEESY_EEENSU_IJLi3ELi5ELi4EEEElEES1F_NS_35ThreadGroupTensorSliceTransfer_v4r1INS_15ThisThreadBlockILi256EEENS_16tensor_operation12element_wise11PassThroughES30_LNS_25InMemoryDataOperationEnumE0ENSU_IJLi8ELi256ELi16EEEENSU_IJLi8ELi32ELi1EEEENSU_IJLi1ELi0ELi2EEEES2_S2_RKS2U_KS1F_S34_NSU_IJLi0ELi1ELi2EEEELi2ELi2ELi16ELi16ELi1ELi1ELb0ELb1ELi2EiEENS_13DynamicBufferILNS_16AddressSpaceEnumE1EKS2_lLb1ELNS_22AmdBufferCoherenceEnumE0EiEENS5_IJNS3A_ILS3B_2ES2_S1E_Lb1ELS3D_0EiEES3F_EEENS5_IJiiiEEENS4_INS5_IJNS6_INS5_IJiiiiEEENS5_IJiiiSD_EEELb0EEEEEES1M_S1O_S1N_lEENS_32ThreadwiseTensorSliceTransfer_v2IS3_S3_RKS3M_KS1Q_NSU_IJLi4ELi1ELi2ELi32EEEENSU_IJLi1ELi2ELi0ELi3EEEELi3ELi32ELi0ELb1ELb0ELb0EEENS3A_ILS3B_1EKS3_lLb1ELS3D_0EiEENS5_IJNS_12StaticBufferILS3B_4ES3_Li256ELb1EEES3X_EEES3I_NS_25StaticBufferTupleOfVectorILS3B_4EfLi32ELi8ELb1ELb0EEEEEvRKT1_RKT2_RT3_RKT4_RT5_RKT6_RKT7_RT8_RKT9_RT10_RKT11_RT12_i.has_dyn_sized_stack, or(0, .L_ZNK2ck44ThreadwiseTensorSliceTransfer_StaticToStaticINS_7pk_i4_tENS_9f8_fnuz_tEKNS_16TensorDescriptorINS_5TupleIJNS_7UnMergeINS4_IJNS_17integral_constantIiLi4EEENS6_IiLi1EEENS6_IiLi2EEENS6_IiLi32EEEEEELb0EEEEEENS4_IJNS_8SequenceIJLi0EEEEEEENS4_IJNSE_IJLi1ELi2ELi3ELi4EEEEEEESH_NS6_IlLl256EEEEESL_NS_16tensor_operation12element_wise11PassThroughENSE_IJLi4ELi1ELi2ELi32EEEENSE_IJLi1ELi2ELi0ELi3EEEELi3ELi32ELb0EE3RunINS4_IJNS6_IiLi0EEEST_ST_ST_EEESU_NS_12StaticBufferILNS_16AddressSpaceEnumE4ES1_Li256ELb1EEENSV_ILSW_4ES2_Li256ELb1EEEEEvRSL_RKT_RKT1_SZ_RKT0_RT2_.has_dyn_sized_stack)
	.set .L_ZNK2ck52BlockwiseGemmXdlops_pipeline_bpreshuffle_bdequant_v3ILNS_26BlockGemmPipelineSchedulerE0ELi256ENS_9f8_fnuz_tENS_7pk_i4_tES2_fNS_16TensorDescriptorINS_5TupleIJNS_5EmbedINS5_IJNS_17integral_constantIiLi8EEENS7_IiLi256EEENS7_IiLi16EEEEEENS5_IJSA_NS7_IiLi128EEENS7_IiLi1EEEEEELb0EEENS_3XorINS5_IJS9_S8_EEELb1EEENS_11PassThroughISA_EENS_7UnMergeINS5_IJS8_SD_EEELb0EEENSJ_IS9_EESK_NSJ_IS8_EENS_21Merge_v3_division_modINS5_IJS9_SD_EEEEESK_EEENS5_IJNS_8SequenceIJLi0EEEENSU_IJLi2ELi1EEEENSU_IJLi3EEEENSU_IJLi5EEEENSU_IJLi4EEEENSU_IJLi6EEEENSU_IJLi7EEEENSU_IJLi9ELi8EEEENSU_IJLi10EEEEEEENS5_IJNSU_IJLi1ELi2ELi3EEEENSU_IJLi4ELi5EEEES10_NSU_IJLi7ELi8EEEENSU_IJLi9EEEES13_NSU_IJLi11EEEENSU_IJLi12EEEENSU_IJLi13EEEEEEENSU_IJLi11ELi12ELi13EEEENS7_IlLl32768EEEEENS4_INS5_IJNSL_INS5_IJNS7_IiLi4EEESD_NS7_IiLi2EEENS7_IiLi32EEEEEELb0EEEEEENS5_IJSV_EEENS5_IJNSU_IJLi1ELi2ELi3ELi4EEEEEEES1N_NS7_IlLl256EEEEENS4_INS5_IJSF_SI_SK_SN_SO_SK_SP_SS_SK_NSQ_INS5_IJS8_SA_EEEEENSL_INS5_IJS8_S1H_SA_EEELb0EEEEEENS5_IJSV_SW_SX_SY_SZ_S10_S11_S12_S13_NSU_IJLi11ELi13EEEES1A_EEENS5_IJS15_S16_S10_S17_S18_S13_S19_S1A_S1B_NSU_IJLi14EEEENSU_IJLi15ELi16ELi17EEEEEEENSU_IJLi15ELi16ELi17ELi14EEEES1E_EENS4_INS5_IJS1K_NSQ_INS5_IJS1G_S1H_EEEEENSL_INS5_IJS1G_S1G_SA_EEELb0EEEEEENS5_IJSV_NSU_IJLi1ELi3EEEENSU_IJLi2EEEEEEENS5_IJS1N_SY_NSU_IJLi6ELi7ELi8EEEEEEENSU_IJLi6ELi7ELi8ELi5EEEES1P_EELi16ELi32ELi256ELi256ELi128ELi16ELi16ELi8ELi4ELi32ELb0EE3RunILb1ELNS_10TailNumberE0ENS4_INS5_IJNS6_INS5_IJiiEEENS5_IJiSD_EEELb0EEENSL_IS2I_Lb0EEENSJ_IiEEEEENS5_IJSV_S29_NSU_IJLi1EEEEEEENS5_IJNSU_IJLi1ELi2EEEENSU_IJLi3ELi4EEEESY_EEENSU_IJLi3ELi5ELi4EEEElEES1F_NS_35ThreadGroupTensorSliceTransfer_v4r1INS_15ThisThreadBlockILi256EEENS_16tensor_operation12element_wise11PassThroughES30_LNS_25InMemoryDataOperationEnumE0ENSU_IJLi8ELi256ELi16EEEENSU_IJLi8ELi32ELi1EEEENSU_IJLi1ELi0ELi2EEEES2_S2_RKS2U_KS1F_S34_NSU_IJLi0ELi1ELi2EEEELi2ELi2ELi16ELi16ELi1ELi1ELb0ELb1ELi2EiEENS_13DynamicBufferILNS_16AddressSpaceEnumE1EKS2_lLb1ELNS_22AmdBufferCoherenceEnumE0EiEENS5_IJNS3A_ILS3B_2ES2_S1E_Lb1ELS3D_0EiEES3F_EEENS5_IJiiiEEENS4_INS5_IJNS6_INS5_IJiiiiEEENS5_IJiiiSD_EEELb0EEEEEES1M_S1O_S1N_lEENS_32ThreadwiseTensorSliceTransfer_v2IS3_S3_RKS3M_KS1Q_NSU_IJLi4ELi1ELi2ELi32EEEENSU_IJLi1ELi2ELi0ELi3EEEELi3ELi32ELi0ELb1ELb0ELb0EEENS3A_ILS3B_1EKS3_lLb1ELS3D_0EiEENS5_IJNS_12StaticBufferILS3B_4ES3_Li256ELb1EEES3X_EEES3I_NS_25StaticBufferTupleOfVectorILS3B_4EfLi32ELi8ELb1ELb0EEEEEvRKT1_RKT2_RT3_RKT4_RT5_RKT6_RKT7_RT8_RKT9_RT10_RKT11_RT12_i.has_recursion, or(0, .L_ZNK2ck44ThreadwiseTensorSliceTransfer_StaticToStaticINS_7pk_i4_tENS_9f8_fnuz_tEKNS_16TensorDescriptorINS_5TupleIJNS_7UnMergeINS4_IJNS_17integral_constantIiLi4EEENS6_IiLi1EEENS6_IiLi2EEENS6_IiLi32EEEEEELb0EEEEEENS4_IJNS_8SequenceIJLi0EEEEEEENS4_IJNSE_IJLi1ELi2ELi3ELi4EEEEEEESH_NS6_IlLl256EEEEESL_NS_16tensor_operation12element_wise11PassThroughENSE_IJLi4ELi1ELi2ELi32EEEENSE_IJLi1ELi2ELi0ELi3EEEELi3ELi32ELb0EE3RunINS4_IJNS6_IiLi0EEEST_ST_ST_EEESU_NS_12StaticBufferILNS_16AddressSpaceEnumE4ES1_Li256ELb1EEENSV_ILSW_4ES2_Li256ELb1EEEEEvRSL_RKT_RKT1_SZ_RKT0_RT2_.has_recursion)
	.set .L_ZNK2ck52BlockwiseGemmXdlops_pipeline_bpreshuffle_bdequant_v3ILNS_26BlockGemmPipelineSchedulerE0ELi256ENS_9f8_fnuz_tENS_7pk_i4_tES2_fNS_16TensorDescriptorINS_5TupleIJNS_5EmbedINS5_IJNS_17integral_constantIiLi8EEENS7_IiLi256EEENS7_IiLi16EEEEEENS5_IJSA_NS7_IiLi128EEENS7_IiLi1EEEEEELb0EEENS_3XorINS5_IJS9_S8_EEELb1EEENS_11PassThroughISA_EENS_7UnMergeINS5_IJS8_SD_EEELb0EEENSJ_IS9_EESK_NSJ_IS8_EENS_21Merge_v3_division_modINS5_IJS9_SD_EEEEESK_EEENS5_IJNS_8SequenceIJLi0EEEENSU_IJLi2ELi1EEEENSU_IJLi3EEEENSU_IJLi5EEEENSU_IJLi4EEEENSU_IJLi6EEEENSU_IJLi7EEEENSU_IJLi9ELi8EEEENSU_IJLi10EEEEEEENS5_IJNSU_IJLi1ELi2ELi3EEEENSU_IJLi4ELi5EEEES10_NSU_IJLi7ELi8EEEENSU_IJLi9EEEES13_NSU_IJLi11EEEENSU_IJLi12EEEENSU_IJLi13EEEEEEENSU_IJLi11ELi12ELi13EEEENS7_IlLl32768EEEEENS4_INS5_IJNSL_INS5_IJNS7_IiLi4EEESD_NS7_IiLi2EEENS7_IiLi32EEEEEELb0EEEEEENS5_IJSV_EEENS5_IJNSU_IJLi1ELi2ELi3ELi4EEEEEEES1N_NS7_IlLl256EEEEENS4_INS5_IJSF_SI_SK_SN_SO_SK_SP_SS_SK_NSQ_INS5_IJS8_SA_EEEEENSL_INS5_IJS8_S1H_SA_EEELb0EEEEEENS5_IJSV_SW_SX_SY_SZ_S10_S11_S12_S13_NSU_IJLi11ELi13EEEES1A_EEENS5_IJS15_S16_S10_S17_S18_S13_S19_S1A_S1B_NSU_IJLi14EEEENSU_IJLi15ELi16ELi17EEEEEEENSU_IJLi15ELi16ELi17ELi14EEEES1E_EENS4_INS5_IJS1K_NSQ_INS5_IJS1G_S1H_EEEEENSL_INS5_IJS1G_S1G_SA_EEELb0EEEEEENS5_IJSV_NSU_IJLi1ELi3EEEENSU_IJLi2EEEEEEENS5_IJS1N_SY_NSU_IJLi6ELi7ELi8EEEEEEENSU_IJLi6ELi7ELi8ELi5EEEES1P_EELi16ELi32ELi256ELi256ELi128ELi16ELi16ELi8ELi4ELi32ELb0EE3RunILb1ELNS_10TailNumberE0ENS4_INS5_IJNS6_INS5_IJiiEEENS5_IJiSD_EEELb0EEENSL_IS2I_Lb0EEENSJ_IiEEEEENS5_IJSV_S29_NSU_IJLi1EEEEEEENS5_IJNSU_IJLi1ELi2EEEENSU_IJLi3ELi4EEEESY_EEENSU_IJLi3ELi5ELi4EEEElEES1F_NS_35ThreadGroupTensorSliceTransfer_v4r1INS_15ThisThreadBlockILi256EEENS_16tensor_operation12element_wise11PassThroughES30_LNS_25InMemoryDataOperationEnumE0ENSU_IJLi8ELi256ELi16EEEENSU_IJLi8ELi32ELi1EEEENSU_IJLi1ELi0ELi2EEEES2_S2_RKS2U_KS1F_S34_NSU_IJLi0ELi1ELi2EEEELi2ELi2ELi16ELi16ELi1ELi1ELb0ELb1ELi2EiEENS_13DynamicBufferILNS_16AddressSpaceEnumE1EKS2_lLb1ELNS_22AmdBufferCoherenceEnumE0EiEENS5_IJNS3A_ILS3B_2ES2_S1E_Lb1ELS3D_0EiEES3F_EEENS5_IJiiiEEENS4_INS5_IJNS6_INS5_IJiiiiEEENS5_IJiiiSD_EEELb0EEEEEES1M_S1O_S1N_lEENS_32ThreadwiseTensorSliceTransfer_v2IS3_S3_RKS3M_KS1Q_NSU_IJLi4ELi1ELi2ELi32EEEENSU_IJLi1ELi2ELi0ELi3EEEELi3ELi32ELi0ELb1ELb0ELb0EEENS3A_ILS3B_1EKS3_lLb1ELS3D_0EiEENS5_IJNS_12StaticBufferILS3B_4ES3_Li256ELb1EEES3X_EEES3I_NS_25StaticBufferTupleOfVectorILS3B_4EfLi32ELi8ELb1ELb0EEEEEvRKT1_RKT2_RT3_RKT4_RT5_RKT6_RKT7_RT8_RKT9_RT10_RKT11_RT12_i.has_indirect_call, or(0, .L_ZNK2ck44ThreadwiseTensorSliceTransfer_StaticToStaticINS_7pk_i4_tENS_9f8_fnuz_tEKNS_16TensorDescriptorINS_5TupleIJNS_7UnMergeINS4_IJNS_17integral_constantIiLi4EEENS6_IiLi1EEENS6_IiLi2EEENS6_IiLi32EEEEEELb0EEEEEENS4_IJNS_8SequenceIJLi0EEEEEEENS4_IJNSE_IJLi1ELi2ELi3ELi4EEEEEEESH_NS6_IlLl256EEEEESL_NS_16tensor_operation12element_wise11PassThroughENSE_IJLi4ELi1ELi2ELi32EEEENSE_IJLi1ELi2ELi0ELi3EEEELi3ELi32ELb0EE3RunINS4_IJNS6_IiLi0EEEST_ST_ST_EEESU_NS_12StaticBufferILNS_16AddressSpaceEnumE4ES1_Li256ELb1EEENSV_ILSW_4ES2_Li256ELb1EEEEEvRSL_RKT_RKT1_SZ_RKT0_RT2_.has_indirect_call)
	.section	.AMDGPU.csdata,"",@progbits
; Function info:
; codeLenInByte = 117128
; TotalNumSgprs: 36
; NumVgprs: 152
; ScratchSize: 1040
; MemoryBound: 0
	.section	.text._ZN2ck45kernel_gemm_xdl_cshuffle_v3_b_preshuffle_2ldsINS_41GridwiseGemm_xdl_cshuffle_v3_b_preshuffleINS_13tensor_layout4gemm8RowMajorENS3_11ColumnMajorES4_NS_9f8_fnuz_tENS_7pk_i4_tEfDF16_DF16_NS_16tensor_operation12element_wise11PassThroughESA_SA_LNS8_6device18GemmSpecializationE0ELi256ELi256ELi256ELi128ELi16ELi32ELi16ELi16ELi8ELi4ENS_8SequenceIJLi8ELi32ELi1EEEENSD_IJLi1ELi0ELi2EEEESF_Li2ELi16ELi16ELb0ELi0ENSD_IJLi4ELi64ELi1EEEESF_SF_Li2ELi32ELi32ELb0ELi0ELi1ELi1ENSD_IJLi1ELi32ELi1ELi8EEEELi4ELNS_26BlockGemmPipelineSchedulerE0ELNS_24BlockGemmPipelineVersionE2ES6_S6_Lb0ELb0ELi0EEELb1ELNS_25InMemoryDataOperationEnumE1ELi1ELNS_10TailNumberE0EEEvNT_8ArgumentE,"axG",@progbits,_ZN2ck45kernel_gemm_xdl_cshuffle_v3_b_preshuffle_2ldsINS_41GridwiseGemm_xdl_cshuffle_v3_b_preshuffleINS_13tensor_layout4gemm8RowMajorENS3_11ColumnMajorES4_NS_9f8_fnuz_tENS_7pk_i4_tEfDF16_DF16_NS_16tensor_operation12element_wise11PassThroughESA_SA_LNS8_6device18GemmSpecializationE0ELi256ELi256ELi256ELi128ELi16ELi32ELi16ELi16ELi8ELi4ENS_8SequenceIJLi8ELi32ELi1EEEENSD_IJLi1ELi0ELi2EEEESF_Li2ELi16ELi16ELb0ELi0ENSD_IJLi4ELi64ELi1EEEESF_SF_Li2ELi32ELi32ELb0ELi0ELi1ELi1ENSD_IJLi1ELi32ELi1ELi8EEEELi4ELNS_26BlockGemmPipelineSchedulerE0ELNS_24BlockGemmPipelineVersionE2ES6_S6_Lb0ELb0ELi0EEELb1ELNS_25InMemoryDataOperationEnumE1ELi1ELNS_10TailNumberE0EEEvNT_8ArgumentE,comdat
	.protected	_ZN2ck45kernel_gemm_xdl_cshuffle_v3_b_preshuffle_2ldsINS_41GridwiseGemm_xdl_cshuffle_v3_b_preshuffleINS_13tensor_layout4gemm8RowMajorENS3_11ColumnMajorES4_NS_9f8_fnuz_tENS_7pk_i4_tEfDF16_DF16_NS_16tensor_operation12element_wise11PassThroughESA_SA_LNS8_6device18GemmSpecializationE0ELi256ELi256ELi256ELi128ELi16ELi32ELi16ELi16ELi8ELi4ENS_8SequenceIJLi8ELi32ELi1EEEENSD_IJLi1ELi0ELi2EEEESF_Li2ELi16ELi16ELb0ELi0ENSD_IJLi4ELi64ELi1EEEESF_SF_Li2ELi32ELi32ELb0ELi0ELi1ELi1ENSD_IJLi1ELi32ELi1ELi8EEEELi4ELNS_26BlockGemmPipelineSchedulerE0ELNS_24BlockGemmPipelineVersionE2ES6_S6_Lb0ELb0ELi0EEELb1ELNS_25InMemoryDataOperationEnumE1ELi1ELNS_10TailNumberE0EEEvNT_8ArgumentE ; -- Begin function _ZN2ck45kernel_gemm_xdl_cshuffle_v3_b_preshuffle_2ldsINS_41GridwiseGemm_xdl_cshuffle_v3_b_preshuffleINS_13tensor_layout4gemm8RowMajorENS3_11ColumnMajorES4_NS_9f8_fnuz_tENS_7pk_i4_tEfDF16_DF16_NS_16tensor_operation12element_wise11PassThroughESA_SA_LNS8_6device18GemmSpecializationE0ELi256ELi256ELi256ELi128ELi16ELi32ELi16ELi16ELi8ELi4ENS_8SequenceIJLi8ELi32ELi1EEEENSD_IJLi1ELi0ELi2EEEESF_Li2ELi16ELi16ELb0ELi0ENSD_IJLi4ELi64ELi1EEEESF_SF_Li2ELi32ELi32ELb0ELi0ELi1ELi1ENSD_IJLi1ELi32ELi1ELi8EEEELi4ELNS_26BlockGemmPipelineSchedulerE0ELNS_24BlockGemmPipelineVersionE2ES6_S6_Lb0ELb0ELi0EEELb1ELNS_25InMemoryDataOperationEnumE1ELi1ELNS_10TailNumberE0EEEvNT_8ArgumentE
	.globl	_ZN2ck45kernel_gemm_xdl_cshuffle_v3_b_preshuffle_2ldsINS_41GridwiseGemm_xdl_cshuffle_v3_b_preshuffleINS_13tensor_layout4gemm8RowMajorENS3_11ColumnMajorES4_NS_9f8_fnuz_tENS_7pk_i4_tEfDF16_DF16_NS_16tensor_operation12element_wise11PassThroughESA_SA_LNS8_6device18GemmSpecializationE0ELi256ELi256ELi256ELi128ELi16ELi32ELi16ELi16ELi8ELi4ENS_8SequenceIJLi8ELi32ELi1EEEENSD_IJLi1ELi0ELi2EEEESF_Li2ELi16ELi16ELb0ELi0ENSD_IJLi4ELi64ELi1EEEESF_SF_Li2ELi32ELi32ELb0ELi0ELi1ELi1ENSD_IJLi1ELi32ELi1ELi8EEEELi4ELNS_26BlockGemmPipelineSchedulerE0ELNS_24BlockGemmPipelineVersionE2ES6_S6_Lb0ELb0ELi0EEELb1ELNS_25InMemoryDataOperationEnumE1ELi1ELNS_10TailNumberE0EEEvNT_8ArgumentE
	.p2align	8
	.type	_ZN2ck45kernel_gemm_xdl_cshuffle_v3_b_preshuffle_2ldsINS_41GridwiseGemm_xdl_cshuffle_v3_b_preshuffleINS_13tensor_layout4gemm8RowMajorENS3_11ColumnMajorES4_NS_9f8_fnuz_tENS_7pk_i4_tEfDF16_DF16_NS_16tensor_operation12element_wise11PassThroughESA_SA_LNS8_6device18GemmSpecializationE0ELi256ELi256ELi256ELi128ELi16ELi32ELi16ELi16ELi8ELi4ENS_8SequenceIJLi8ELi32ELi1EEEENSD_IJLi1ELi0ELi2EEEESF_Li2ELi16ELi16ELb0ELi0ENSD_IJLi4ELi64ELi1EEEESF_SF_Li2ELi32ELi32ELb0ELi0ELi1ELi1ENSD_IJLi1ELi32ELi1ELi8EEEELi4ELNS_26BlockGemmPipelineSchedulerE0ELNS_24BlockGemmPipelineVersionE2ES6_S6_Lb0ELb0ELi0EEELb1ELNS_25InMemoryDataOperationEnumE1ELi1ELNS_10TailNumberE0EEEvNT_8ArgumentE,@function
_ZN2ck45kernel_gemm_xdl_cshuffle_v3_b_preshuffle_2ldsINS_41GridwiseGemm_xdl_cshuffle_v3_b_preshuffleINS_13tensor_layout4gemm8RowMajorENS3_11ColumnMajorES4_NS_9f8_fnuz_tENS_7pk_i4_tEfDF16_DF16_NS_16tensor_operation12element_wise11PassThroughESA_SA_LNS8_6device18GemmSpecializationE0ELi256ELi256ELi256ELi128ELi16ELi32ELi16ELi16ELi8ELi4ENS_8SequenceIJLi8ELi32ELi1EEEENSD_IJLi1ELi0ELi2EEEESF_Li2ELi16ELi16ELb0ELi0ENSD_IJLi4ELi64ELi1EEEESF_SF_Li2ELi32ELi32ELb0ELi0ELi1ELi1ENSD_IJLi1ELi32ELi1ELi8EEEELi4ELNS_26BlockGemmPipelineSchedulerE0ELNS_24BlockGemmPipelineVersionE2ES6_S6_Lb0ELb0ELi0EEELb1ELNS_25InMemoryDataOperationEnumE1ELi1ELNS_10TailNumberE0EEEvNT_8ArgumentE: ; @_ZN2ck45kernel_gemm_xdl_cshuffle_v3_b_preshuffle_2ldsINS_41GridwiseGemm_xdl_cshuffle_v3_b_preshuffleINS_13tensor_layout4gemm8RowMajorENS3_11ColumnMajorES4_NS_9f8_fnuz_tENS_7pk_i4_tEfDF16_DF16_NS_16tensor_operation12element_wise11PassThroughESA_SA_LNS8_6device18GemmSpecializationE0ELi256ELi256ELi256ELi128ELi16ELi32ELi16ELi16ELi8ELi4ENS_8SequenceIJLi8ELi32ELi1EEEENSD_IJLi1ELi0ELi2EEEESF_Li2ELi16ELi16ELb0ELi0ENSD_IJLi4ELi64ELi1EEEESF_SF_Li2ELi32ELi32ELb0ELi0ELi1ELi1ENSD_IJLi1ELi32ELi1ELi8EEEELi4ELNS_26BlockGemmPipelineSchedulerE0ELNS_24BlockGemmPipelineVersionE2ES6_S6_Lb0ELb0ELi0EEELb1ELNS_25InMemoryDataOperationEnumE1ELi1ELNS_10TailNumberE0EEEvNT_8ArgumentE
; %bb.0:
	s_clause 0x5
	s_load_b64 s[14:15], s[0:1], 0x24
	s_load_b96 s[4:6], s[0:1], 0x60
	s_load_b128 s[16:19], s[0:1], 0x10
	s_load_b32 s7, s[0:1], 0x34
	s_load_b32 s12, s[0:1], 0x3c
	s_load_b128 s[0:3], s[0:1], 0x50
	s_lshr_b32 s13, ttmp7, 16
	v_mov_b32_e32 v41, v0
	s_mov_b32 s22, ttmp9
	s_movk_i32 s32, 0xd20
	s_wait_kmcnt 0x0
	s_cmp_gt_i32 s15, 1
	s_cselect_b32 s8, -1, 0
	s_bitcmp1_b32 s6, 0
	s_cselect_b32 s6, -1, 0
	s_delay_alu instid0(SALU_CYCLE_1)
	s_and_b32 s6, s8, s6
	s_mov_b64 s[8:9], 0
	s_and_not1_b32 vcc_lo, exec_lo, s6
	s_cbranch_vccnz .LBB7_2
; %bb.1:
	s_mul_i32 s6, s16, s13
	s_delay_alu instid0(SALU_CYCLE_1) | instskip(NEXT) | instid1(SALU_CYCLE_1)
	s_mul_i32 s8, s6, s17
	s_ashr_i32 s9, s8, 31
.LBB7_2:
	s_add_co_i32 s6, s15, -1
	s_mul_i32 s20, s7, s13
	s_mul_i32 s10, s6, s7
	v_dual_mov_b32 v0, 0 :: v_dual_mov_b32 v1, s16
	s_sub_co_i32 s10, s18, s10
	s_cmp_lt_u32 s13, s6
	s_mov_b32 s6, 0
	s_cselect_b32 s10, s7, s10
	s_add_co_i32 s7, s18, 63
	s_ashr_i32 s21, s20, 31
	s_ashr_i32 s11, s7, 31
	s_add_nc_u64 s[0:1], s[0:1], s[20:21]
	s_lshr_b32 s11, s11, 26
	s_mov_b32 s20, s19
	s_add_co_i32 s11, s7, s11
	s_mov_b32 s21, s6
	s_add_co_i32 s7, s16, -1
	s_add_co_i32 s15, s17, 15
	s_mul_u64 s[20:21], s[6:7], s[20:21]
	s_ashr_i32 s18, s11, 6
	s_ashr_i32 s25, s21, 31
	;; [unrolled: 1-line block ×3, first 2 shown]
	s_mov_b32 s24, s21
	s_getpc_b64 s[20:21]
	s_sext_i32_i16 s21, s21
	s_add_co_u32 s20, s20, _ZN2ck41GridwiseGemm_xdl_cshuffle_v3_b_preshuffleINS_13tensor_layout4gemm8RowMajorENS2_11ColumnMajorES3_NS_9f8_fnuz_tENS_7pk_i4_tEfDF16_DF16_NS_16tensor_operation12element_wise11PassThroughES9_S9_LNS7_6device18GemmSpecializationE0ELi256ELi256ELi256ELi128ELi16ELi32ELi16ELi16ELi8ELi4ENS_8SequenceIJLi8ELi32ELi1EEEENSC_IJLi1ELi0ELi2EEEESE_Li2ELi16ELi16ELb0ELi0ENSC_IJLi4ELi64ELi1EEEESE_SE_Li2ELi32ELi32ELb0ELi0ELi1ELi1ENSC_IJLi1ELi32ELi1ELi8EEEELi4ELNS_26BlockGemmPipelineSchedulerE0ELNS_24BlockGemmPipelineVersionE2ES5_S5_Lb0ELb0ELi0EE5NWaveE@rel32@lo+8
	s_add_co_ci_u32 s21, s21, _ZN2ck41GridwiseGemm_xdl_cshuffle_v3_b_preshuffleINS_13tensor_layout4gemm8RowMajorENS2_11ColumnMajorES3_NS_9f8_fnuz_tENS_7pk_i4_tEfDF16_DF16_NS_16tensor_operation12element_wise11PassThroughES9_S9_LNS7_6device18GemmSpecializationE0ELi256ELi256ELi256ELi128ELi16ELi32ELi16ELi16ELi8ELi4ENS_8SequenceIJLi8ELi32ELi1EEEENSC_IJLi1ELi0ELi2EEEESE_Li2ELi16ELi16ELb0ELi0ENSC_IJLi4ELi64ELi1EEEESE_SE_Li2ELi32ELi32ELb0ELi0ELi1ELi1ENSC_IJLi1ELi32ELi1ELi8EEEELi4ELNS_26BlockGemmPipelineSchedulerE0ELNS_24BlockGemmPipelineVersionE2ES5_S5_Lb0ELb0ELi0EE5NWaveE@rel32@hi+16
	v_dual_mov_b32 v2, s10 :: v_dual_mov_b32 v3, s19
	s_load_b32 s23, s[20:21], 0x0
	v_mov_b32_e32 v4, 16
	s_add_nc_u64 s[24:25], s[24:25], s[10:11]
	s_mul_i32 s11, s16, s12
	s_ashr_i32 s20, s15, 31
	s_wait_alu 0xfffe
	s_lshl_b32 s11, s11, 4
	s_clause 0x1
	scratch_store_b96 off, v[1:3], off offset:3232
	scratch_store_b32 off, v0, off offset:3244
	v_mov_b32_e32 v3, s12
	s_wait_alu 0xfffe
	v_dual_mov_b32 v5, v4 :: v_dual_mov_b32 v2, s11
	s_lshr_b32 s11, s20, 26
	v_dual_mov_b32 v6, s24 :: v_dual_mov_b32 v7, s25
	s_wait_alu 0xfffe
	s_add_co_i32 s15, s15, s11
	s_lshl_b32 s11, s18, 12
	s_ashr_i32 s30, s15, 6
	s_lshl_b32 s15, s18, 10
	s_add_co_i32 s21, s30, -1
	s_add_co_i32 s26, s15, 0xfffffc00
	s_wait_alu 0xfffe
	s_mul_i32 s27, s21, s11
	s_wait_kmcnt 0x0
	s_add_co_i32 s20, s23, -1
	s_or_b32 s28, s27, 0x400
	s_mul_i32 s31, s15, s30
	s_mul_i32 s20, s20, s15
	s_ashr_i32 s27, s26, 31
	s_ashr_i32 s29, s28, 31
	s_clause 0x3
	scratch_store_b96 off, v[3:5], off offset:3248
	scratch_store_b8 off, v0, off offset:3260
	scratch_store_b64 off, v[1:2], off offset:3264
	scratch_store_b64 off, v[6:7], off offset:3272
	v_dual_mov_b32 v1, s30 :: v_dual_mov_b32 v2, s23
	v_dual_mov_b32 v3, s18 :: v_dual_mov_b32 v4, 0x400
	s_mul_i32 s18, s31, s23
	s_ashr_i32 s21, s20, 31
	s_add_nc_u64 s[26:27], s[28:29], s[26:27]
	s_wait_alu 0xfffe
	v_mov_b32_e32 v5, s18
	s_add_nc_u64 s[20:21], s[26:27], s[20:21]
	scratch_store_b128 off, v[1:4], off offset:3280
	v_dual_mov_b32 v2, s11 :: v_dual_mov_b32 v3, s15
	v_dual_mov_b32 v13, s20 :: v_dual_mov_b32 v6, s1
	;; [unrolled: 1-line block ×5, first 2 shown]
	scratch_store_b32 off, v5, off offset:3312
	v_dual_mov_b32 v5, s0 :: v_dual_mov_b32 v8, s25
	s_cmp_lt_u32 s7, 0x100
	s_clause 0x5
	scratch_store_b96 off, v[2:4], off offset:3296
	scratch_store_b64 off, v[13:14], off offset:3320
	scratch_store_b128 off, v[5:8], off
	scratch_store_b8 off, v0, off offset:16
	scratch_store_b128 off, v[9:12], off offset:24
	scratch_store_b8 off, v0, off offset:40
	s_cbranch_scc1 .LBB7_6
; %bb.3:
	s_add_co_i32 s0, s17, -1
	s_wait_alu 0xfffe
	s_cmp_lt_u32 s0, 0x100
	s_mov_b32 s0, 0
	s_cbranch_scc1 .LBB7_10
; %bb.4:
	s_add_co_i32 s0, s16, 0xff
	s_add_co_i32 s1, s17, 0xff
	s_wait_alu 0xfffe
	s_ashr_i32 s2, s0, 31
	s_ashr_i32 s3, s1, 31
	s_wait_alu 0xfffe
	s_lshr_b32 s2, s2, 24
	s_lshr_b32 s3, s3, 24
	s_wait_alu 0xfffe
	s_add_co_i32 s0, s0, s2
	s_add_co_i32 s2, s1, s3
	s_wait_alu 0xfffe
	s_ashr_i32 s1, s0, 8
	s_ashr_i32 s0, s2, 8
	;; [unrolled: 1-line block ×3, first 2 shown]
	s_wait_alu 0xfffe
	s_mul_i32 s2, s0, s1
	s_wait_alu 0xfffe
	s_add_co_i32 s3, s2, 7
	s_wait_alu 0xfffe
	s_ashr_i32 s18, s3, 31
	s_wait_alu 0xfffe
	s_lshr_b32 s18, s18, 29
	s_wait_alu 0xfffe
	s_add_co_i32 s23, s3, s18
	s_lshr_b32 s3, s20, 29
	s_wait_alu 0xfffe
	s_and_b32 s18, s23, -8
	s_add_co_i32 s21, s22, s3
	s_wait_alu 0xfffe
	s_sub_co_i32 s3, s2, s18
	s_and_b32 s2, s21, -8
	s_wait_alu 0xfffe
	s_add_co_i32 s3, s3, 8
	s_sub_co_i32 s18, s22, s2
	s_ashr_i32 s20, s23, 3
	s_wait_alu 0xfffe
	s_cmp_gt_i32 s18, s3
	s_cbranch_scc1 .LBB7_7
; %bb.5:
	s_mul_i32 s2, s20, s18
	s_ashr_i32 s21, s21, 3
	s_cbranch_execz .LBB7_8
	s_branch .LBB7_9
.LBB7_6:
	s_mov_b32 s23, s6
	s_branch .LBB7_11
.LBB7_7:
                                        ; implicit-def: $sgpr2
	s_ashr_i32 s21, s21, 3
.LBB7_8:
	s_add_co_i32 s2, s20, -1
	s_wait_alu 0xfffe
	s_mul_i32 s2, s2, s18
	s_wait_alu 0xfffe
	s_add_co_i32 s2, s3, s2
.LBB7_9:
	s_abs_i32 s3, s0
	s_wait_alu 0xfffe
	s_add_co_i32 s2, s2, s21
	s_cvt_f32_u32 s18, s3
	s_sub_co_i32 s20, 0, s3
	s_wait_alu 0xfffe
	s_abs_i32 s21, s2
	v_rcp_iflag_f32_e32 v1, s18
	s_delay_alu instid0(TRANS32_DEP_1) | instskip(SKIP_2) | instid1(SALU_CYCLE_2)
	v_readfirstlane_b32 s18, v1
	s_mul_f32 s18, s18, 0x4f7ffffe
	s_wait_alu 0xfffe
	s_cvt_u32_f32 s18, s18
	s_wait_alu 0xfffe
	s_delay_alu instid0(SALU_CYCLE_2)
	s_mul_i32 s20, s20, s18
	s_wait_alu 0xfffe
	s_mul_hi_u32 s20, s18, s20
	s_wait_alu 0xfffe
	s_add_co_i32 s18, s18, s20
	s_xor_b32 s20, s2, s0
	s_wait_alu 0xfffe
	s_mul_hi_u32 s18, s21, s18
	s_ashr_i32 s20, s20, 31
	s_wait_alu 0xfffe
	s_mul_i32 s22, s18, s3
	s_wait_alu 0xfffe
	s_sub_co_i32 s21, s21, s22
	s_add_co_i32 s22, s18, 1
	s_wait_alu 0xfffe
	s_sub_co_i32 s23, s21, s3
	s_cmp_ge_u32 s21, s3
	s_cselect_b32 s18, s22, s18
	s_wait_alu 0xfffe
	s_cselect_b32 s21, s23, s21
	s_add_co_i32 s22, s18, 1
	s_wait_alu 0xfffe
	s_cmp_ge_u32 s21, s3
	s_cselect_b32 s3, s22, s18
	s_lshr_b32 s18, s1, 30
	s_wait_alu 0xfffe
	s_xor_b32 s3, s3, s20
	s_add_co_i32 s18, s1, s18
	s_wait_alu 0xfffe
	s_sub_co_i32 s3, s3, s20
	s_and_b32 s18, s18, -4
	s_wait_alu 0xfffe
	s_mul_i32 s20, s3, s0
	s_sub_co_i32 s1, s1, s18
	s_wait_alu 0xfffe
	s_sub_co_i32 s2, s2, s20
	s_cmp_ge_i32 s3, s18
	s_cselect_b32 s1, s1, 4
	s_ashr_i32 s21, s3, 31
	s_wait_alu 0xfffe
	s_abs_i32 s18, s1
	s_lshr_b32 s21, s21, 30
	s_wait_alu 0xfffe
	s_cvt_f32_u32 s20, s18
	s_add_co_i32 s21, s3, s21
	s_sub_co_i32 s22, 0, s18
	s_wait_alu 0xfffe
	s_and_b32 s21, s21, -4
	v_rcp_iflag_f32_e32 v1, s20
	s_wait_alu 0xfffe
	s_sub_co_i32 s21, s3, s21
	s_wait_alu 0xfffe
	s_mul_i32 s0, s21, s0
	s_wait_alu 0xfffe
	s_add_co_i32 s2, s0, s2
	s_delay_alu instid0(TRANS32_DEP_1) | instskip(SKIP_2) | instid1(SALU_CYCLE_2)
	v_readfirstlane_b32 s20, v1
	s_mul_f32 s20, s20, 0x4f7ffffe
	s_wait_alu 0xfffe
	s_cvt_u32_f32 s20, s20
	s_wait_alu 0xfffe
	s_delay_alu instid0(SALU_CYCLE_2)
	s_mul_i32 s22, s22, s20
	s_wait_alu 0xfffe
	s_mul_hi_u32 s0, s20, s22
	s_abs_i32 s22, s2
	s_wait_alu 0xfffe
	s_add_co_i32 s20, s20, s0
	s_wait_alu 0xfffe
	s_mul_hi_u32 s0, s22, s20
	s_xor_b32 s20, s2, s1
	s_wait_alu 0xfffe
	s_mul_i32 s23, s0, s18
	s_ashr_i32 s20, s20, 31
	s_wait_alu 0xfffe
	s_sub_co_i32 s22, s22, s23
	s_add_co_i32 s23, s0, 1
	s_wait_alu 0xfffe
	s_sub_co_i32 s24, s22, s18
	s_cmp_ge_u32 s22, s18
	s_cselect_b32 s0, s23, s0
	s_wait_alu 0xfffe
	s_cselect_b32 s22, s24, s22
	s_add_co_i32 s23, s0, 1
	s_wait_alu 0xfffe
	s_cmp_ge_u32 s22, s18
	s_cselect_b32 s0, s23, s0
	s_wait_alu 0xfffe
	s_xor_b32 s0, s0, s20
	s_wait_alu 0xfffe
	s_sub_co_i32 s0, s0, s20
	s_wait_alu 0xfffe
	s_mul_i32 s1, s0, s1
	s_wait_alu 0xfffe
	s_sub_co_i32 s1, s2, s1
	s_wait_alu 0xfffe
	s_add_co_i32 s1, s1, s3
	s_wait_alu 0xfffe
	s_sub_co_i32 s22, s1, s21
.LBB7_10:
	s_wait_alu 0xfffe
	s_mov_b32 s23, s22
	s_mov_b32 s22, s0
.LBB7_11:
	v_and_b32_e32 v7, 7, v41
	s_mov_b64 s[0:1], src_shared_base
	s_add_co_i32 s0, s10, 63
	v_dual_mov_b32 v16, v0 :: v_dual_and_b32 v15, 0xf8, v41
	s_delay_alu instid0(VALU_DEP_2)
	v_dual_mov_b32 v3, v7 :: v_dual_lshlrev_b32 v6, 4, v7
	s_wait_alu 0xfffe
	s_ashr_i32 s2, s0, 31
	s_mov_b32 s24, s6
	s_mov_b32 s25, s6
	;; [unrolled: 1-line block ×4, first 2 shown]
	s_wait_alu 0xfffe
	s_lshr_b32 s2, s2, 26
	v_dual_mov_b32 v11, s24 :: v_dual_mov_b32 v12, s25
	v_dual_mov_b32 v13, s26 :: v_dual_mov_b32 v14, s27
	v_lshl_or_b32 v1, s23, 8, v15
	v_lshl_or_b32 v2, v15, 7, v6
	s_wait_alu 0xfffe
	s_add_co_i32 s0, s0, s2
	s_lshl_b32 s10, s22, 2
	s_wait_alu 0xfffe
	s_ashr_i32 s0, s0, 6
	s_getpc_b64 s[2:3]
	s_wait_alu 0xfffe
	s_sext_i32_i16 s3, s3
	s_add_co_u32 s2, s2, __const._ZN2ck41GridwiseGemm_xdl_cshuffle_v3_b_preshuffleINS_13tensor_layout4gemm8RowMajorENS2_11ColumnMajorES3_NS_9f8_fnuz_tENS_7pk_i4_tEfDF16_DF16_NS_16tensor_operation12element_wise11PassThroughES9_S9_LNS7_6device18GemmSpecializationE0ELi256ELi256ELi256ELi128ELi16ELi32ELi16ELi16ELi8ELi4ENS_8SequenceIJLi8ELi32ELi1EEEENSC_IJLi1ELi0ELi2EEEESE_Li2ELi16ELi16ELb0ELi0ENSC_IJLi4ELi64ELi1EEEESE_SE_Li2ELi32ELi32ELb0ELi0ELi1ELi1ENSC_IJLi1ELi32ELi1ELi8EEEELi4ELNS_26BlockGemmPipelineSchedulerE0ELNS_24BlockGemmPipelineVersionE2ES5_S5_Lb0ELb0ELi0EE8Run_2LdsIKNS_16TensorDescriptorINS_5TupleIJNS_5EmbedINSM_IJiiEEENSM_IJiNS_17integral_constantIiLi1EEEEEELb0EEENS_7UnMergeISO_Lb0EEENS_11PassThroughIiEEEEENSM_IJNSC_IJLi0EEEENSC_IJLi2EEEENSC_IJLi1EEEEEEENSM_IJNSC_IJLi1ELi2EEEENSC_IJLi3ELi4EEEENSC_IJLi5EEEEEEENSC_IJLi3ELi5ELi4EEEElEEKNSL_INSM_IJNSN_INSM_IJiiiiEEENSM_IJiiiSQ_EEELb0EEEEEENSM_IJSY_EEENSM_IJNSC_IJLi1ELi2ELi3ELi4EEEEEEES1E_lEEKNSL_INSM_IJSS_NS_8RightPadIiiLb0EEES1J_NST_INSM_IJiNSP_IiLi256EEEEEELb0EEES1M_EEENSM_IJSY_S10_SZ_NSC_IJLi3EEEENSC_IJLi4EEEEEEENSM_IJS12_S1O_S1P_NSC_IJLi5ELi6EEEENSC_IJLi7ELi8EEEEEEENSC_IJLi5ELi6ELi7ELi8EEEElEELb1ELNS_25InMemoryDataOperationEnumE1ELNS_10TailNumberE0EEEvPKS5_PKS6_PDF16_PvS24_RKNSJ_7ProblemERKT_RKT0_RKT1_i.a_block_slice_copy_step@rel32@lo+12
	s_wait_alu 0xfffe
	s_add_co_ci_u32 s3, s3, __const._ZN2ck41GridwiseGemm_xdl_cshuffle_v3_b_preshuffleINS_13tensor_layout4gemm8RowMajorENS2_11ColumnMajorES3_NS_9f8_fnuz_tENS_7pk_i4_tEfDF16_DF16_NS_16tensor_operation12element_wise11PassThroughES9_S9_LNS7_6device18GemmSpecializationE0ELi256ELi256ELi256ELi128ELi16ELi32ELi16ELi16ELi8ELi4ENS_8SequenceIJLi8ELi32ELi1EEEENSC_IJLi1ELi0ELi2EEEESE_Li2ELi16ELi16ELb0ELi0ENSC_IJLi4ELi64ELi1EEEESE_SE_Li2ELi32ELi32ELb0ELi0ELi1ELi1ENSC_IJLi1ELi32ELi1ELi8EEEELi4ELNS_26BlockGemmPipelineSchedulerE0ELNS_24BlockGemmPipelineVersionE2ES5_S5_Lb0ELb0ELi0EE8Run_2LdsIKNS_16TensorDescriptorINS_5TupleIJNS_5EmbedINSM_IJiiEEENSM_IJiNS_17integral_constantIiLi1EEEEEELb0EEENS_7UnMergeISO_Lb0EEENS_11PassThroughIiEEEEENSM_IJNSC_IJLi0EEEENSC_IJLi2EEEENSC_IJLi1EEEEEEENSM_IJNSC_IJLi1ELi2EEEENSC_IJLi3ELi4EEEENSC_IJLi5EEEEEEENSC_IJLi3ELi5ELi4EEEElEEKNSL_INSM_IJNSN_INSM_IJiiiiEEENSM_IJiiiSQ_EEELb0EEEEEENSM_IJSY_EEENSM_IJNSC_IJLi1ELi2ELi3ELi4EEEEEEES1E_lEEKNSL_INSM_IJSS_NS_8RightPadIiiLb0EEES1J_NST_INSM_IJiNSP_IiLi256EEEEEELb0EEES1M_EEENSM_IJSY_S10_SZ_NSC_IJLi3EEEENSC_IJLi4EEEEEEENSM_IJS12_S1O_S1P_NSC_IJLi5ELi6EEEENSC_IJLi7ELi8EEEEEEENSC_IJLi5ELi6ELi7ELi8EEEElEELb1ELNS_25InMemoryDataOperationEnumE1ELNS_10TailNumberE0EEEvPKS5_PKS6_PDF16_PvS24_RKNSJ_7ProblemERKT_RKT0_RKT1_i.a_block_slice_copy_step@rel32@hi+24
	s_clause 0x1f
	scratch_store_b128 off, v[11:14], off offset:160
	scratch_store_b128 off, v[11:14], off offset:144
	;; [unrolled: 1-line block ×8, first 2 shown]
	scratch_store_b16 off, v0, off offset:176
	scratch_store_b128 off, v[11:14], off offset:192
	scratch_store_b128 off, v[11:14], off offset:208
	;; [unrolled: 1-line block ×7, first 2 shown]
	scratch_store_b16 off, v0, off offset:320
	scratch_store_b128 off, v[11:14], off offset:304
	scratch_store_b128 off, v[11:14], off offset:448
	;; [unrolled: 1-line block ×9, first 2 shown]
	scratch_store_b8 off, v0, off offset:464
	scratch_store_b128 off, v[11:14], off offset:466
	scratch_store_b128 off, v[11:14], off offset:482
	;; [unrolled: 1-line block ×5, first 2 shown]
	s_clause 0xa
	scratch_store_b128 off, v[11:14], off offset:546
	scratch_store_b128 off, v[11:14], off offset:562
	;; [unrolled: 1-line block ×3, first 2 shown]
	scratch_store_b8 off, v0, off offset:594
	scratch_store_b128 off, v[11:14], off offset:720
	scratch_store_b128 off, v[11:14], off offset:704
	;; [unrolled: 1-line block ×7, first 2 shown]
	v_mov_b32_e32 v2, s6
	v_mad_co_u64_u32 v[4:5], null, v1, s19, v[6:7]
	s_getpc_b64 s[18:19]
	s_wait_alu 0xfffe
	s_sext_i32_i16 s19, s19
	s_add_co_u32 s18, s18, __const._ZN2ck41GridwiseGemm_xdl_cshuffle_v3_b_preshuffleINS_13tensor_layout4gemm8RowMajorENS2_11ColumnMajorES3_NS_9f8_fnuz_tENS_7pk_i4_tEfDF16_DF16_NS_16tensor_operation12element_wise11PassThroughES9_S9_LNS7_6device18GemmSpecializationE0ELi256ELi256ELi256ELi128ELi16ELi32ELi16ELi16ELi8ELi4ENS_8SequenceIJLi8ELi32ELi1EEEENSC_IJLi1ELi0ELi2EEEESE_Li2ELi16ELi16ELb0ELi0ENSC_IJLi4ELi64ELi1EEEESE_SE_Li2ELi32ELi32ELb0ELi0ELi1ELi1ENSC_IJLi1ELi32ELi1ELi8EEEELi4ELNS_26BlockGemmPipelineSchedulerE0ELNS_24BlockGemmPipelineVersionE2ES5_S5_Lb0ELb0ELi0EE8Run_2LdsIKNS_16TensorDescriptorINS_5TupleIJNS_5EmbedINSM_IJiiEEENSM_IJiNS_17integral_constantIiLi1EEEEEELb0EEENS_7UnMergeISO_Lb0EEENS_11PassThroughIiEEEEENSM_IJNSC_IJLi0EEEENSC_IJLi2EEEENSC_IJLi1EEEEEEENSM_IJNSC_IJLi1ELi2EEEENSC_IJLi3ELi4EEEENSC_IJLi5EEEEEEENSC_IJLi3ELi5ELi4EEEElEEKNSL_INSM_IJNSN_INSM_IJiiiiEEENSM_IJiiiSQ_EEELb0EEEEEENSM_IJSY_EEENSM_IJNSC_IJLi1ELi2ELi3ELi4EEEEEEES1E_lEEKNSL_INSM_IJSS_NS_8RightPadIiiLb0EEES1J_NST_INSM_IJiNSP_IiLi256EEEEEELb0EEES1M_EEENSM_IJSY_S10_SZ_NSC_IJLi3EEEENSC_IJLi4EEEEEEENSM_IJS12_S1O_S1P_NSC_IJLi5ELi6EEEENSC_IJLi7ELi8EEEEEEENSC_IJLi5ELi6ELi7ELi8EEEElEELb1ELNS_25InMemoryDataOperationEnumE1ELNS_10TailNumberE0EEEvPKS5_PKS6_PDF16_PvS24_RKNSJ_7ProblemERKT_RKT0_RKT1_i.b_block_slice_copy_step@rel32@lo+12
	s_wait_alu 0xfffe
	s_add_co_ci_u32 s19, s19, __const._ZN2ck41GridwiseGemm_xdl_cshuffle_v3_b_preshuffleINS_13tensor_layout4gemm8RowMajorENS2_11ColumnMajorES3_NS_9f8_fnuz_tENS_7pk_i4_tEfDF16_DF16_NS_16tensor_operation12element_wise11PassThroughES9_S9_LNS7_6device18GemmSpecializationE0ELi256ELi256ELi256ELi128ELi16ELi32ELi16ELi16ELi8ELi4ENS_8SequenceIJLi8ELi32ELi1EEEENSC_IJLi1ELi0ELi2EEEESE_Li2ELi16ELi16ELb0ELi0ENSC_IJLi4ELi64ELi1EEEESE_SE_Li2ELi32ELi32ELb0ELi0ELi1ELi1ENSC_IJLi1ELi32ELi1ELi8EEEELi4ELNS_26BlockGemmPipelineSchedulerE0ELNS_24BlockGemmPipelineVersionE2ES5_S5_Lb0ELb0ELi0EE8Run_2LdsIKNS_16TensorDescriptorINS_5TupleIJNS_5EmbedINSM_IJiiEEENSM_IJiNS_17integral_constantIiLi1EEEEEELb0EEENS_7UnMergeISO_Lb0EEENS_11PassThroughIiEEEEENSM_IJNSC_IJLi0EEEENSC_IJLi2EEEENSC_IJLi1EEEEEEENSM_IJNSC_IJLi1ELi2EEEENSC_IJLi3ELi4EEEENSC_IJLi5EEEEEEENSC_IJLi3ELi5ELi4EEEElEEKNSL_INSM_IJNSN_INSM_IJiiiiEEENSM_IJiiiSQ_EEELb0EEEEEENSM_IJSY_EEENSM_IJNSC_IJLi1ELi2ELi3ELi4EEEEEEES1E_lEEKNSL_INSM_IJSS_NS_8RightPadIiiLb0EEES1J_NST_INSM_IJiNSP_IiLi256EEEEEELb0EEES1M_EEENSM_IJSY_S10_SZ_NSC_IJLi3EEEENSC_IJLi4EEEEEEENSM_IJS12_S1O_S1P_NSC_IJLi5ELi6EEEENSC_IJLi7ELi8EEEEEEENSC_IJLi5ELi6ELi7ELi8EEEElEELb1ELNS_25InMemoryDataOperationEnumE1ELNS_10TailNumberE0EEEvPKS5_PKS6_PDF16_PvS24_RKNSJ_7ProblemERKT_RKT0_RKT1_i.b_block_slice_copy_step@rel32@hi+24
	s_clause 0x1
	scratch_store_b128 off, v[11:14], off offset:624
	scratch_store_b128 off, v[11:14], off offset:608
	s_load_b64 s[2:3], s[2:3], 0x0
	s_load_b128 s[24:27], s[18:19], 0x0
	v_bfe_u32 v10, v41, 5, 2
	v_dual_mov_b32 v17, v15 :: v_dual_lshlrev_b32 v8, 5, v41
	v_dual_mov_b32 v5, v1 :: v_dual_mov_b32 v18, v7
	s_delay_alu instid0(VALU_DEP_3) | instskip(SKIP_1) | instid1(VALU_DEP_4)
	v_mul_lo_u32 v9, s15, v10
	v_mov_b32_e32 v1, v7
	v_and_b32_e32 v19, 0x3e0, v8
	v_mov_b32_e32 v3, v15
	s_mul_i32 s0, s0, s13
	s_mul_i32 s11, s10, s11
	s_wait_alu 0xfffe
	s_lshl_b32 s13, s0, 10
	v_mov_b32_e32 v11, s0
	v_or_b32_e32 v8, v9, v19
	scratch_store_b128 off, v[0:3], off offset:800
	v_dual_mov_b32 v2, v15 :: v_dual_mov_b32 v3, s6
	v_mov_b32_e32 v9, s10
	s_wait_alu 0xfffe
	v_add3_u32 v8, s11, s13, v8
	s_clause 0x2
	scratch_store_b16 off, v0, off offset:736
	scratch_store_b128 off, v[4:7], off offset:752
	scratch_store_b128 off, v[0:3], off offset:816
	s_wait_kmcnt 0x0
	v_dual_mov_b32 v2, s24 :: v_dual_mov_b32 v1, s1
	v_dual_mov_b32 v3, s25 :: v_dual_mov_b32 v4, s26
	v_mov_b32_e32 v5, s27
	s_clause 0x2
	scratch_store_b128 off, v[15:18], off offset:784
	scratch_store_b128 off, v[8:11], off offset:848
	scratch_store_b32 off, v19, off offset:864
	v_dual_mov_b32 v8, 0x8000 :: v_dual_mov_b32 v9, s1
	s_mov_b32 s0, s6
	v_dual_mov_b32 v12, s3 :: v_dual_mov_b32 v11, s2
	s_clause 0x6
	scratch_store_b64 off, v[0:1], off offset:872
	scratch_store_b8 off, v0, off offset:881
	scratch_store_b64 off, v[8:9], off offset:888
	scratch_store_b8 off, v0, off offset:897
	scratch_store_b32 off, v0, off offset:912
	scratch_store_b64 off, v[11:12], off offset:904
	scratch_store_b128 off, v[2:5], off offset:916
.LBB7_12:                               ; =>This Inner Loop Header: Depth=1
	s_wait_alu 0xfffe
	s_add_co_i32 s1, s0, 0x3c0
	s_add_co_i32 s0, s0, 1
	scratch_store_b8 off, v0, s1
	s_wait_alu 0xfffe
	s_cmp_lt_u32 s0, 0x4e0
	s_cbranch_scc1 .LBB7_12
; %bb.13:
	v_lshrrev_b32_e32 v42, 7, v41
	v_and_b32_e32 v43, 15, v41
	s_lshl_b64 s[2:3], s[8:9], 1
	s_mov_b32 s15, 0
	v_bfe_u32 v12, v41, 4, 1
	s_wait_alu 0xfffe
	s_add_nc_u64 s[20:21], s[4:5], s[2:3]
	v_lshl_or_b32 v6, v42, 4, v43
	v_lshlrev_b32_e32 v0, 2, v41
	s_mul_u64 s[18:19], s[6:7], s[14:15]
	s_mov_b32 s4, s15
	s_mov_b32 s5, s15
	;; [unrolled: 1-line block ×3, first 2 shown]
	v_and_b32_e32 v11, 64, v0
	s_mov_b32 s7, s15
	v_lshlrev_b32_e32 v1, 7, v6
	v_dual_mov_b32 v0, v10 :: v_dual_lshlrev_b32 v9, 1, v12
	s_delay_alu instid0(VALU_DEP_3) | instskip(SKIP_2) | instid1(VALU_DEP_3)
	v_lshrrev_b32_e32 v8, 4, v11
	v_lshl_or_b32 v10, v10, 4, v43
	s_mov_b64 s[0:1], src_private_base
	v_xor_b32_e32 v3, v9, v7
	s_ashr_i32 s0, s12, 31
	v_xor_b32_e32 v5, v8, v7
	v_mov_b32_e32 v7, v6
	s_wait_alu 0xfffe
	s_lshr_b32 s0, s0, 29
	v_lshl_or_b32 v2, v3, 4, v1
	s_wait_alu 0xfffe
	s_add_co_i32 s12, s12, s0
	v_lshl_or_b32 v4, v5, 4, v1
	v_mov_b32_e32 v1, v43
	s_wait_alu 0xfffe
	s_ashr_i32 s0, s12, 3
	v_dual_mov_b32 v13, s1 :: v_dual_mov_b32 v20, 0x8a0
	scratch_store_b96 off, v[4:6], off offset:1984
	v_dual_mov_b32 v5, v8 :: v_dual_lshlrev_b32 v4, 5, v12
	s_clause 0x4
	scratch_store_b64 off, v[7:8], off offset:2000
	scratch_store_b32 off, v8, off offset:2012
	scratch_store_b32 off, v6, off offset:2020
	scratch_store_b64 off, v[5:6], off offset:2028
	scratch_store_b32 off, v11, off offset:2040
	v_mov_b32_e32 v8, v6
	v_lshrrev_b32_e32 v45, 1, v11
	v_dual_mov_b32 v7, s1 :: v_dual_mov_b32 v14, 0x350
	s_wait_alu 0xfffe
	v_dual_mov_b32 v15, s1 :: v_dual_mov_b32 v22, s0
	s_delay_alu instid0(VALU_DEP_3)
	v_add_lshl_u32 v44, v10, v45, 6
	s_clause 0x4
	scratch_store_b128 off, v[42:45], off offset:2048
	scratch_store_b32 off, v10, off offset:2064
	scratch_store_b32 off, v11, off offset:2076
	scratch_store_b128 off, v[0:3], off offset:2084
	scratch_store_b32 off, v6, off offset:2100
	v_dual_mov_b32 v0, s4 :: v_dual_mov_b32 v1, s5
	v_dual_mov_b32 v2, s6 :: v_dual_mov_b32 v3, s7
	v_mov_b32_e32 v5, v9
	s_clause 0x3
	scratch_store_b64 off, v[8:9], off offset:2108
	scratch_store_b32 off, v9, off offset:2120
	scratch_store_b32 off, v6, off offset:2128
	scratch_store_b64 off, v[5:6], off offset:2136
	v_dual_mov_b32 v5, s1 :: v_dual_mov_b32 v6, 0
	s_clause 0x1f
	scratch_store_b32 off, v4, off offset:2148
	scratch_store_b64 off, v[42:43], off offset:2156
	scratch_store_b64 off, v[42:43], off offset:2168
	scratch_store_b32 off, v12, off offset:2180
	scratch_store_b128 off, v[0:3], off offset:3216
	scratch_store_b128 off, v[0:3], off offset:3200
	;; [unrolled: 1-line block ×28, first 2 shown]
	s_clause 0x1d
	scratch_store_b128 off, v[0:3], off offset:2768
	scratch_store_b128 off, v[0:3], off offset:2752
	;; [unrolled: 1-line block ×30, first 2 shown]
	v_mov_b32_e32 v4, 48
	s_clause 0x5
	scratch_store_b128 off, v[0:3], off offset:2288
	scratch_store_b128 off, v[0:3], off offset:2272
	;; [unrolled: 1-line block ×6, first 2 shown]
	v_dual_mov_b32 v0, 0x3c0 :: v_dual_mov_b32 v1, s1
	v_mov_b32_e32 v8, 0x368
	v_dual_mov_b32 v2, 0xca0 :: v_dual_mov_b32 v3, s1
	v_dual_mov_b32 v10, 0x388 :: v_dual_mov_b32 v9, s1
	;; [unrolled: 1-line block ×3, first 2 shown]
	v_mov_b32_e32 v18, 0x394
	v_dual_mov_b32 v12, 0xcd0 :: v_dual_mov_b32 v17, s1
	v_mov_b32_e32 v19, s1
	v_mov_b32_e32 v21, s1
	s_getpc_b64 s[2:3]
	s_wait_alu 0xfffe
	s_sext_i32_i16 s3, s3
	s_add_co_u32 s2, s2, _ZNK2ck52BlockwiseGemmXdlops_pipeline_bpreshuffle_bdequant_v3ILNS_26BlockGemmPipelineSchedulerE0ELi256ENS_9f8_fnuz_tENS_7pk_i4_tES2_fNS_16TensorDescriptorINS_5TupleIJNS_5EmbedINS5_IJNS_17integral_constantIiLi8EEENS7_IiLi256EEENS7_IiLi16EEEEEENS5_IJSA_NS7_IiLi128EEENS7_IiLi1EEEEEELb0EEENS_3XorINS5_IJS9_S8_EEELb1EEENS_11PassThroughISA_EENS_7UnMergeINS5_IJS8_SD_EEELb0EEENSJ_IS9_EESK_NSJ_IS8_EENS_21Merge_v3_division_modINS5_IJS9_SD_EEEEESK_EEENS5_IJNS_8SequenceIJLi0EEEENSU_IJLi2ELi1EEEENSU_IJLi3EEEENSU_IJLi5EEEENSU_IJLi4EEEENSU_IJLi6EEEENSU_IJLi7EEEENSU_IJLi9ELi8EEEENSU_IJLi10EEEEEEENS5_IJNSU_IJLi1ELi2ELi3EEEENSU_IJLi4ELi5EEEES10_NSU_IJLi7ELi8EEEENSU_IJLi9EEEES13_NSU_IJLi11EEEENSU_IJLi12EEEENSU_IJLi13EEEEEEENSU_IJLi11ELi12ELi13EEEENS7_IlLl32768EEEEENS4_INS5_IJNSL_INS5_IJNS7_IiLi4EEESD_NS7_IiLi2EEENS7_IiLi32EEEEEELb0EEEEEENS5_IJSV_EEENS5_IJNSU_IJLi1ELi2ELi3ELi4EEEEEEES1N_NS7_IlLl256EEEEENS4_INS5_IJSF_SI_SK_SN_SO_SK_SP_SS_SK_NSQ_INS5_IJS8_SA_EEEEENSL_INS5_IJS8_S1H_SA_EEELb0EEEEEENS5_IJSV_SW_SX_SY_SZ_S10_S11_S12_S13_NSU_IJLi11ELi13EEEES1A_EEENS5_IJS15_S16_S10_S17_S18_S13_S19_S1A_S1B_NSU_IJLi14EEEENSU_IJLi15ELi16ELi17EEEEEEENSU_IJLi15ELi16ELi17ELi14EEEES1E_EENS4_INS5_IJS1K_NSQ_INS5_IJS1G_S1H_EEEEENSL_INS5_IJS1G_S1G_SA_EEELb0EEEEEENS5_IJSV_NSU_IJLi1ELi3EEEENSU_IJLi2EEEEEEENS5_IJS1N_SY_NSU_IJLi6ELi7ELi8EEEEEEENSU_IJLi6ELi7ELi8ELi5EEEES1P_EELi16ELi32ELi256ELi256ELi128ELi16ELi16ELi8ELi4ELi32ELb0EE3RunILb1ELNS_10TailNumberE0ENS4_INS5_IJNS6_INS5_IJiiEEENS5_IJiSD_EEELb0EEENSL_IS2I_Lb0EEENSJ_IiEEEEENS5_IJSV_S29_NSU_IJLi1EEEEEEENS5_IJNSU_IJLi1ELi2EEEENSU_IJLi3ELi4EEEESY_EEENSU_IJLi3ELi5ELi4EEEElEES1F_NS_35ThreadGroupTensorSliceTransfer_v4r1INS_15ThisThreadBlockILi256EEENS_16tensor_operation12element_wise11PassThroughES30_LNS_25InMemoryDataOperationEnumE0ENSU_IJLi8ELi256ELi16EEEENSU_IJLi8ELi32ELi1EEEENSU_IJLi1ELi0ELi2EEEES2_S2_RKS2U_KS1F_S34_NSU_IJLi0ELi1ELi2EEEELi2ELi2ELi16ELi16ELi1ELi1ELb0ELb1ELi2EiEENS_13DynamicBufferILNS_16AddressSpaceEnumE1EKS2_lLb1ELNS_22AmdBufferCoherenceEnumE0EiEENS5_IJNS3A_ILS3B_2ES2_S1E_Lb1ELS3D_0EiEES3F_EEENS5_IJiiiEEENS4_INS5_IJNS6_INS5_IJiiiiEEENS5_IJiiiSD_EEELb0EEEEEES1M_S1O_S1N_lEENS_32ThreadwiseTensorSliceTransfer_v2IS3_S3_RKS3M_KS1Q_NSU_IJLi4ELi1ELi2ELi32EEEENSU_IJLi1ELi2ELi0ELi3EEEELi3ELi32ELi0ELb1ELb0ELb0EEENS3A_ILS3B_1EKS3_lLb1ELS3D_0EiEENS5_IJNS_12StaticBufferILS3B_4ES3_Li256ELb1EEES3X_EEES3I_NS_25StaticBufferTupleOfVectorILS3B_4EfLi32ELi8ELb1ELb0EEEEEvRKT1_RKT2_RT3_RKT4_RT5_RKT6_RKT7_RT8_RKT9_RT10_RKT11_RT12_i@rel32@lo+12
	s_wait_alu 0xfffe
	s_add_co_ci_u32 s3, s3, _ZNK2ck52BlockwiseGemmXdlops_pipeline_bpreshuffle_bdequant_v3ILNS_26BlockGemmPipelineSchedulerE0ELi256ENS_9f8_fnuz_tENS_7pk_i4_tES2_fNS_16TensorDescriptorINS_5TupleIJNS_5EmbedINS5_IJNS_17integral_constantIiLi8EEENS7_IiLi256EEENS7_IiLi16EEEEEENS5_IJSA_NS7_IiLi128EEENS7_IiLi1EEEEEELb0EEENS_3XorINS5_IJS9_S8_EEELb1EEENS_11PassThroughISA_EENS_7UnMergeINS5_IJS8_SD_EEELb0EEENSJ_IS9_EESK_NSJ_IS8_EENS_21Merge_v3_division_modINS5_IJS9_SD_EEEEESK_EEENS5_IJNS_8SequenceIJLi0EEEENSU_IJLi2ELi1EEEENSU_IJLi3EEEENSU_IJLi5EEEENSU_IJLi4EEEENSU_IJLi6EEEENSU_IJLi7EEEENSU_IJLi9ELi8EEEENSU_IJLi10EEEEEEENS5_IJNSU_IJLi1ELi2ELi3EEEENSU_IJLi4ELi5EEEES10_NSU_IJLi7ELi8EEEENSU_IJLi9EEEES13_NSU_IJLi11EEEENSU_IJLi12EEEENSU_IJLi13EEEEEEENSU_IJLi11ELi12ELi13EEEENS7_IlLl32768EEEEENS4_INS5_IJNSL_INS5_IJNS7_IiLi4EEESD_NS7_IiLi2EEENS7_IiLi32EEEEEELb0EEEEEENS5_IJSV_EEENS5_IJNSU_IJLi1ELi2ELi3ELi4EEEEEEES1N_NS7_IlLl256EEEEENS4_INS5_IJSF_SI_SK_SN_SO_SK_SP_SS_SK_NSQ_INS5_IJS8_SA_EEEEENSL_INS5_IJS8_S1H_SA_EEELb0EEEEEENS5_IJSV_SW_SX_SY_SZ_S10_S11_S12_S13_NSU_IJLi11ELi13EEEES1A_EEENS5_IJS15_S16_S10_S17_S18_S13_S19_S1A_S1B_NSU_IJLi14EEEENSU_IJLi15ELi16ELi17EEEEEEENSU_IJLi15ELi16ELi17ELi14EEEES1E_EENS4_INS5_IJS1K_NSQ_INS5_IJS1G_S1H_EEEEENSL_INS5_IJS1G_S1G_SA_EEELb0EEEEEENS5_IJSV_NSU_IJLi1ELi3EEEENSU_IJLi2EEEEEEENS5_IJS1N_SY_NSU_IJLi6ELi7ELi8EEEEEEENSU_IJLi6ELi7ELi8ELi5EEEES1P_EELi16ELi32ELi256ELi256ELi128ELi16ELi16ELi8ELi4ELi32ELb0EE3RunILb1ELNS_10TailNumberE0ENS4_INS5_IJNS6_INS5_IJiiEEENS5_IJiSD_EEELb0EEENSL_IS2I_Lb0EEENSJ_IiEEEEENS5_IJSV_S29_NSU_IJLi1EEEEEEENS5_IJNSU_IJLi1ELi2EEEENSU_IJLi3ELi4EEEESY_EEENSU_IJLi3ELi5ELi4EEEElEES1F_NS_35ThreadGroupTensorSliceTransfer_v4r1INS_15ThisThreadBlockILi256EEENS_16tensor_operation12element_wise11PassThroughES30_LNS_25InMemoryDataOperationEnumE0ENSU_IJLi8ELi256ELi16EEEENSU_IJLi8ELi32ELi1EEEENSU_IJLi1ELi0ELi2EEEES2_S2_RKS2U_KS1F_S34_NSU_IJLi0ELi1ELi2EEEELi2ELi2ELi16ELi16ELi1ELi1ELb0ELb1ELi2EiEENS_13DynamicBufferILNS_16AddressSpaceEnumE1EKS2_lLb1ELNS_22AmdBufferCoherenceEnumE0EiEENS5_IJNS3A_ILS3B_2ES2_S1E_Lb1ELS3D_0EiEES3F_EEENS5_IJiiiEEENS4_INS5_IJNS6_INS5_IJiiiiEEENS5_IJiiiSD_EEELb0EEEEEES1M_S1O_S1N_lEENS_32ThreadwiseTensorSliceTransfer_v2IS3_S3_RKS3M_KS1Q_NSU_IJLi4ELi1ELi2ELi32EEEENSU_IJLi1ELi2ELi0ELi3EEEELi3ELi32ELi0ELb1ELb0ELb0EEENS3A_ILS3B_1EKS3_lLb1ELS3D_0EiEENS5_IJNS_12StaticBufferILS3B_4ES3_Li256ELb1EEES3X_EEES3I_NS_25StaticBufferTupleOfVectorILS3B_4EfLi32ELi8ELb1ELb0EEEEEvRKT1_RKT2_RT3_RKT4_RT5_RKT6_RKT7_RT8_RKT9_RT10_RKT11_RT12_i@rel32@hi+24
	s_mov_b32 s24, 4
	s_wait_alu 0xfffe
	s_swappc_b64 s[30:31], s[2:3]
	s_wait_dscnt 0x0
	s_barrier_signal -1
	s_barrier_wait -1
	s_clause 0x1
	scratch_load_b128 v[3:6], off, off offset:2208
	scratch_load_b128 v[7:10], off, off offset:2224
	v_lshrrev_b32_e32 v0, 1, v41
	v_lshrrev_b32_e32 v1, 3, v41
	v_lshlrev_b32_e32 v2, 3, v41
	v_and_b32_e32 v12, 0x60, v41
	v_lshlrev_b32_e32 v13, 1, v43
	v_and_b32_e32 v0, 8, v0
	s_lshl_b32 s9, s14, 5
	v_and_b32_e32 v11, 56, v2
	v_lshl_or_b32 v2, s23, 8, v1
	s_mov_b32 s23, 0x31004000
	v_and_or_b32 v0, v1, 16, v0
	s_delay_alu instid0(VALU_DEP_3) | instskip(SKIP_2) | instid1(VALU_DEP_4)
	v_lshlrev_b32_e32 v14, 1, v11
	v_lshl_or_b32 v11, s22, 8, v11
	v_cmp_gt_i32_e64 s7, s16, v2
	v_lshlrev_b32_e32 v15, 7, v0
	v_or_b32_e32 v22, 0x60, v2
	v_lshl_or_b32 v0, v1, 7, v14
	v_cmp_gt_i32_e32 vcc_lo, s17, v11
	s_delay_alu instid0(VALU_DEP_4)
	v_or3_b32 v1, v12, v15, v13
	v_mad_co_u64_u32 v[15:16], null, v2, s14, v[11:12]
	s_and_b32 s0, s7, vcc_lo
	v_or_b32_e32 v13, 64, v11
	v_or_b32_e32 v16, 64, v2
	v_lshlrev_b32_e32 v12, 1, v15
	s_wait_loadcnt 0x1
	v_cvt_f16_f32_e32 v3, v3
	v_cvt_f16_f32_e32 v4, v4
	;; [unrolled: 1-line block ×4, first 2 shown]
	s_wait_loadcnt 0x0
	v_cvt_f16_f32_e32 v7, v7
	v_cvt_f16_f32_e32 v8, v8
	;; [unrolled: 1-line block ×4, first 2 shown]
	ds_store_b16 v1, v3
	ds_store_b16 v1, v4 offset:128
	ds_store_b16 v1, v5 offset:256
	;; [unrolled: 1-line block ×7, first 2 shown]
	s_wait_dscnt 0x0
	s_barrier_signal -1
	s_barrier_wait -1
	ds_load_b64 v[3:4], v0
	s_wait_alu 0xfffe
	v_cndmask_b32_e64 v5, 0x80000000, 0, s0
	s_add_co_i32 s0, s17, s19
	v_or_b32_e32 v6, 4, v11
	s_wait_alu 0xfffe
	s_lshl_b32 s22, s0, 1
	v_add_nc_u32_e32 v5, v5, v12
	s_wait_dscnt 0x0
	s_clause 0x1
	buffer_atomic_pk_add_f16 v3, v5, s[20:23], null offen
	buffer_atomic_pk_add_f16 v4, v5, s[20:23], s24 offen
	ds_load_b64 v[3:4], v0 offset:8
	v_cmp_gt_i32_e64 s0, s17, v6
	s_and_b32 s1, s7, s0
	s_wait_alu 0xfffe
	v_cndmask_b32_e64 v5, 0x80000000, 0, s1
	v_cmp_gt_i32_e64 s1, s17, v13
	v_or_b32_e32 v13, 0x80, v11
	s_delay_alu instid0(VALU_DEP_3)
	v_add_nc_u32_e32 v5, v12, v5
	s_wait_dscnt 0x0
	s_clause 0x1
	buffer_atomic_pk_add_f16 v3, v5, s[20:23], null offen offset:8
	buffer_atomic_pk_add_f16 v4, v5, s[20:23], s24 offen offset:8
	s_wait_dscnt 0x0
	s_barrier_signal -1
	s_barrier_wait -1
	s_clause 0x1
	scratch_load_b128 v[3:6], off, off offset:2240
	scratch_load_b128 v[7:10], off, off offset:2256
	s_and_b32 s2, s7, s1
	s_wait_loadcnt 0x1
	v_cvt_f16_f32_e32 v3, v3
	v_cvt_f16_f32_e32 v4, v4
	;; [unrolled: 1-line block ×4, first 2 shown]
	s_wait_loadcnt 0x0
	v_cvt_f16_f32_e32 v7, v7
	v_cvt_f16_f32_e32 v8, v8
	v_cvt_f16_f32_e32 v9, v9
	v_cvt_f16_f32_e32 v10, v10
	ds_store_b16 v1, v3
	ds_store_b16 v1, v4 offset:128
	ds_store_b16 v1, v5 offset:256
	;; [unrolled: 1-line block ×7, first 2 shown]
	s_wait_dscnt 0x0
	s_barrier_signal -1
	s_barrier_wait -1
	ds_load_b64 v[3:4], v0
	s_wait_alu 0xfffe
	v_cndmask_b32_e64 v5, 0x80000000, 0, s2
	v_or_b32_e32 v6, 0x44, v11
	s_delay_alu instid0(VALU_DEP_2)
	v_add_nc_u32_e32 v5, v12, v5
	s_wait_dscnt 0x0
	s_clause 0x1
	buffer_atomic_pk_add_f16 v3, v5, s[20:23], null offen offset:128
	buffer_atomic_pk_add_f16 v4, v5, s[20:23], s24 offen offset:128
	ds_load_b64 v[3:4], v0 offset:8
	v_cmp_gt_i32_e64 s2, s17, v6
	s_and_b32 s3, s7, s2
	s_wait_alu 0xfffe
	v_cndmask_b32_e64 v5, 0x80000000, 0, s3
	v_cmp_gt_i32_e64 s3, s17, v13
	v_or_b32_e32 v13, 0xc0, v11
	s_delay_alu instid0(VALU_DEP_3)
	v_add_nc_u32_e32 v5, v12, v5
	s_wait_dscnt 0x0
	s_clause 0x1
	buffer_atomic_pk_add_f16 v3, v5, s[20:23], null offen offset:136
	buffer_atomic_pk_add_f16 v4, v5, s[20:23], s24 offen offset:136
	s_wait_dscnt 0x0
	s_barrier_signal -1
	s_barrier_wait -1
	s_clause 0x1
	scratch_load_b128 v[3:6], off, off offset:2272
	scratch_load_b128 v[7:10], off, off offset:2288
	s_and_b32 s4, s7, s3
	s_wait_loadcnt 0x1
	v_cvt_f16_f32_e32 v3, v3
	v_cvt_f16_f32_e32 v4, v4
	;; [unrolled: 1-line block ×4, first 2 shown]
	s_wait_loadcnt 0x0
	v_cvt_f16_f32_e32 v7, v7
	v_cvt_f16_f32_e32 v8, v8
	;; [unrolled: 1-line block ×4, first 2 shown]
	ds_store_b16 v1, v3
	ds_store_b16 v1, v4 offset:128
	ds_store_b16 v1, v5 offset:256
	;; [unrolled: 1-line block ×7, first 2 shown]
	s_wait_dscnt 0x0
	s_barrier_signal -1
	s_barrier_wait -1
	ds_load_b64 v[3:4], v0
	s_wait_alu 0xfffe
	v_cndmask_b32_e64 v5, 0x80000000, 0, s4
	v_or_b32_e32 v6, 0x84, v11
	s_delay_alu instid0(VALU_DEP_2)
	v_add_nc_u32_e32 v5, v12, v5
	s_wait_dscnt 0x0
	s_clause 0x1
	buffer_atomic_pk_add_f16 v3, v5, s[20:23], null offen offset:256
	buffer_atomic_pk_add_f16 v4, v5, s[20:23], s24 offen offset:256
	ds_load_b64 v[3:4], v0 offset:8
	v_cmp_gt_i32_e64 s4, s17, v6
	s_and_b32 s5, s7, s4
	s_wait_alu 0xfffe
	v_cndmask_b32_e64 v5, 0x80000000, 0, s5
	v_cmp_gt_i32_e64 s5, s17, v13
	v_add_nc_u32_e32 v13, 0xc0, v15
	v_add_nc_u32_e32 v15, s9, v15
	s_delay_alu instid0(VALU_DEP_4)
	v_add_nc_u32_e32 v5, v12, v5
	s_wait_dscnt 0x0
	s_clause 0x1
	buffer_atomic_pk_add_f16 v3, v5, s[20:23], null offen offset:264
	buffer_atomic_pk_add_f16 v4, v5, s[20:23], s24 offen offset:264
	s_wait_dscnt 0x0
	s_barrier_signal -1
	s_barrier_wait -1
	s_clause 0x1
	scratch_load_b128 v[3:6], off, off offset:2304
	scratch_load_b128 v[7:10], off, off offset:2320
	s_and_b32 s6, s7, s5
	v_add_nc_u32_e32 v20, s9, v15
	s_delay_alu instid0(VALU_DEP_1)
	v_lshlrev_b32_e32 v19, 1, v20
	v_add_nc_u32_e32 v21, 0xc0, v20
	v_add_nc_u32_e32 v20, s9, v20
	s_wait_loadcnt 0x1
	v_cvt_f16_f32_e32 v3, v3
	v_cvt_f16_f32_e32 v4, v4
	;; [unrolled: 1-line block ×4, first 2 shown]
	s_wait_loadcnt 0x0
	v_cvt_f16_f32_e32 v7, v7
	v_cvt_f16_f32_e32 v8, v8
	;; [unrolled: 1-line block ×4, first 2 shown]
	ds_store_b16 v1, v3
	ds_store_b16 v1, v4 offset:128
	ds_store_b16 v1, v5 offset:256
	;; [unrolled: 1-line block ×7, first 2 shown]
	s_wait_dscnt 0x0
	s_barrier_signal -1
	s_barrier_wait -1
	ds_load_b64 v[3:4], v0
	s_wait_alu 0xfffe
	v_cndmask_b32_e64 v5, 0x80000000, 0, s6
	v_or_b32_e32 v6, 0xc4, v11
	v_or_b32_e32 v11, 32, v2
	s_delay_alu instid0(VALU_DEP_3)
	v_lshl_add_u32 v5, v13, 1, v5
	s_wait_dscnt 0x0
	s_clause 0x1
	buffer_atomic_pk_add_f16 v3, v5, s[20:23], null offen
	buffer_atomic_pk_add_f16 v4, v5, s[20:23], s24 offen
	ds_load_b64 v[3:4], v0 offset:8
	v_cmp_gt_i32_e64 s6, s17, v6
	v_add_lshl_u32 v13, v13, s9, 1
	s_and_b32 s7, s7, s6
	s_wait_alu 0xfffe
	v_cndmask_b32_e64 v5, 0x80000000, 0, s7
	v_cmp_gt_i32_e64 s7, s16, v11
	s_delay_alu instid0(VALU_DEP_2)
	v_add_nc_u32_e32 v5, v12, v5
	s_wait_dscnt 0x0
	s_clause 0x1
	buffer_atomic_pk_add_f16 v3, v5, s[20:23], null offen offset:392
	buffer_atomic_pk_add_f16 v4, v5, s[20:23], s24 offen offset:392
	s_wait_dscnt 0x0
	s_barrier_signal -1
	s_barrier_wait -1
	s_clause 0x1
	scratch_load_b128 v[3:6], off, off offset:2432
	scratch_load_b128 v[7:10], off, off offset:2448
	s_and_b32 s8, s7, s5
	s_wait_loadcnt 0x1
	v_cvt_f16_f32_e32 v3, v3
	v_cvt_f16_f32_e32 v4, v4
	;; [unrolled: 1-line block ×4, first 2 shown]
	s_wait_loadcnt 0x0
	v_cvt_f16_f32_e32 v7, v7
	v_cvt_f16_f32_e32 v8, v8
	;; [unrolled: 1-line block ×4, first 2 shown]
	ds_store_b16 v1, v3
	ds_store_b16 v1, v4 offset:128
	ds_store_b16 v1, v5 offset:256
	;; [unrolled: 1-line block ×7, first 2 shown]
	s_wait_dscnt 0x0
	s_barrier_signal -1
	s_barrier_wait -1
	ds_load_b64 v[3:4], v0
	s_wait_alu 0xfffe
	v_cndmask_b32_e64 v5, 0x80000000, 0, s8
	s_and_b32 s8, s7, s6
	s_delay_alu instid0(VALU_DEP_1)
	v_add_nc_u32_e32 v5, v13, v5
	s_wait_dscnt 0x0
	s_clause 0x1
	buffer_atomic_pk_add_f16 v3, v5, s[20:23], null offen
	buffer_atomic_pk_add_f16 v4, v5, s[20:23], s24 offen
	ds_load_b64 v[3:4], v0 offset:8
	v_cndmask_b32_e64 v5, 0x80000008, 8, s8
	s_and_b32 s8, s7, s3
	s_delay_alu instid0(VALU_DEP_1)
	v_add_nc_u32_e32 v5, v13, v5
	s_wait_dscnt 0x0
	s_clause 0x1
	buffer_atomic_pk_add_f16 v3, v5, s[20:23], null offen
	buffer_atomic_pk_add_f16 v4, v5, s[20:23], s24 offen
	s_wait_dscnt 0x0
	s_barrier_signal -1
	s_barrier_wait -1
	s_clause 0x1
	scratch_load_b128 v[3:6], off, off offset:2400
	scratch_load_b128 v[7:10], off, off offset:2416
	s_wait_loadcnt 0x1
	v_cvt_f16_f32_e32 v3, v3
	v_cvt_f16_f32_e32 v4, v4
	;; [unrolled: 1-line block ×4, first 2 shown]
	s_wait_loadcnt 0x0
	v_cvt_f16_f32_e32 v7, v7
	v_cvt_f16_f32_e32 v8, v8
	;; [unrolled: 1-line block ×4, first 2 shown]
	ds_store_b16 v1, v3
	ds_store_b16 v1, v4 offset:128
	ds_store_b16 v1, v5 offset:256
	;; [unrolled: 1-line block ×7, first 2 shown]
	s_wait_dscnt 0x0
	s_barrier_signal -1
	s_barrier_wait -1
	ds_load_b64 v[4:5], v0
	v_mov_b32_e32 v3, 0xffffff80
	s_delay_alu instid0(VALU_DEP_1) | instskip(SKIP_1) | instid1(VALU_DEP_1)
	v_cndmask_b32_e64 v6, 0x7fffff80, v3, s8
	s_and_b32 s8, s7, s4
	v_add_nc_u32_e32 v6, v13, v6
	s_wait_dscnt 0x0
	s_clause 0x1
	buffer_atomic_pk_add_f16 v4, v6, s[20:23], null offen
	buffer_atomic_pk_add_f16 v5, v6, s[20:23], s24 offen
	ds_load_b64 v[5:6], v0 offset:8
	v_mov_b32_e32 v4, 0xffffff88
	s_delay_alu instid0(VALU_DEP_1) | instskip(SKIP_1) | instid1(VALU_DEP_1)
	v_cndmask_b32_e64 v7, 0x7fffff88, v4, s8
	s_and_b32 s8, s7, s1
	v_add_nc_u32_e32 v7, v13, v7
	s_wait_dscnt 0x0
	s_clause 0x1
	buffer_atomic_pk_add_f16 v5, v7, s[20:23], null offen
	buffer_atomic_pk_add_f16 v6, v7, s[20:23], s24 offen
	s_wait_dscnt 0x0
	s_barrier_signal -1
	s_barrier_wait -1
	s_clause 0x1
	scratch_load_b128 v[5:8], off, off offset:2368
	scratch_load_b128 v[9:12], off, off offset:2384
	s_wait_loadcnt 0x1
	v_cvt_f16_f32_e32 v5, v5
	v_cvt_f16_f32_e32 v6, v6
	;; [unrolled: 1-line block ×4, first 2 shown]
	s_wait_loadcnt 0x0
	v_cvt_f16_f32_e32 v9, v9
	v_cvt_f16_f32_e32 v10, v10
	;; [unrolled: 1-line block ×4, first 2 shown]
	ds_store_b16 v1, v5
	ds_store_b16 v1, v6 offset:128
	ds_store_b16 v1, v7 offset:256
	;; [unrolled: 1-line block ×7, first 2 shown]
	s_wait_dscnt 0x0
	s_barrier_signal -1
	s_barrier_wait -1
	ds_load_b64 v[6:7], v0
	v_mov_b32_e32 v5, 0xffffff00
	s_delay_alu instid0(VALU_DEP_1) | instskip(SKIP_1) | instid1(VALU_DEP_1)
	v_cndmask_b32_e64 v8, 0x7fffff00, v5, s8
	s_and_b32 s8, s7, s2
	v_add_nc_u32_e32 v8, v13, v8
	s_wait_dscnt 0x0
	s_clause 0x1
	buffer_atomic_pk_add_f16 v6, v8, s[20:23], null offen
	buffer_atomic_pk_add_f16 v7, v8, s[20:23], s24 offen
	ds_load_b64 v[7:8], v0 offset:8
	v_mov_b32_e32 v6, 0xffffff08
	s_delay_alu instid0(VALU_DEP_1) | instskip(SKIP_2) | instid1(VALU_DEP_1)
	v_cndmask_b32_e64 v9, 0x7fffff08, v6, s8
	s_and_b32 s8, vcc_lo, s7
	s_and_b32 s7, s7, s0
	v_add_nc_u32_e32 v9, v13, v9
	s_wait_dscnt 0x0
	s_clause 0x1
	buffer_atomic_pk_add_f16 v7, v9, s[20:23], null offen
	buffer_atomic_pk_add_f16 v8, v9, s[20:23], s24 offen
	s_wait_dscnt 0x0
	s_barrier_signal -1
	s_barrier_wait -1
	s_clause 0x1
	scratch_load_b128 v[7:10], off, off offset:2336
	scratch_load_b128 v[11:14], off, off offset:2352
	s_wait_loadcnt 0x1
	v_cvt_f16_f32_e32 v7, v7
	v_cvt_f16_f32_e32 v8, v8
	;; [unrolled: 1-line block ×4, first 2 shown]
	s_wait_loadcnt 0x0
	v_cvt_f16_f32_e32 v11, v11
	v_cvt_f16_f32_e32 v12, v12
	;; [unrolled: 1-line block ×4, first 2 shown]
	ds_store_b16 v1, v7
	ds_store_b16 v1, v8 offset:128
	ds_store_b16 v1, v9 offset:256
	;; [unrolled: 1-line block ×7, first 2 shown]
	s_wait_dscnt 0x0
	s_barrier_signal -1
	s_barrier_wait -1
	ds_load_b64 v[7:8], v0
	v_cndmask_b32_e64 v9, 0x80000000, 0, s8
	v_lshlrev_b32_e32 v10, 1, v15
	s_delay_alu instid0(VALU_DEP_1)
	v_add_nc_u32_e32 v9, v9, v10
	s_wait_dscnt 0x0
	s_clause 0x1
	buffer_atomic_pk_add_f16 v7, v9, s[20:23], null offen
	buffer_atomic_pk_add_f16 v8, v9, s[20:23], s24 offen
	ds_load_b64 v[7:8], v0 offset:8
	v_cndmask_b32_e64 v9, 0x80000000, 0, s7
	v_cmp_gt_i32_e64 s7, s16, v16
	s_delay_alu instid0(VALU_DEP_2)
	v_add_nc_u32_e32 v9, v10, v9
	s_wait_dscnt 0x0
	s_clause 0x1
	buffer_atomic_pk_add_f16 v7, v9, s[20:23], null offen offset:8
	buffer_atomic_pk_add_f16 v8, v9, s[20:23], s24 offen offset:8
	s_wait_dscnt 0x0
	s_barrier_signal -1
	s_barrier_wait -1
	s_clause 0x1
	scratch_load_b128 v[7:10], off, off offset:2464
	scratch_load_b128 v[11:14], off, off offset:2480
	s_and_b32 s8, vcc_lo, s7
	s_wait_loadcnt 0x1
	v_cvt_f16_f32_e32 v7, v7
	v_cvt_f16_f32_e32 v8, v8
	;; [unrolled: 1-line block ×4, first 2 shown]
	s_wait_loadcnt 0x0
	v_cvt_f16_f32_e32 v11, v11
	v_cvt_f16_f32_e32 v12, v12
	;; [unrolled: 1-line block ×4, first 2 shown]
	ds_store_b16 v1, v7
	ds_store_b16 v1, v8 offset:128
	ds_store_b16 v1, v9 offset:256
	;; [unrolled: 1-line block ×7, first 2 shown]
	s_wait_dscnt 0x0
	s_barrier_signal -1
	s_barrier_wait -1
	ds_load_b64 v[7:8], v0
	s_wait_alu 0xfffe
	v_cndmask_b32_e64 v9, 0x80000000, 0, s8
	s_and_b32 s8, s7, s0
	s_delay_alu instid0(VALU_DEP_1)
	v_add_nc_u32_e32 v9, v19, v9
	s_wait_dscnt 0x0
	s_clause 0x1
	buffer_atomic_pk_add_f16 v7, v9, s[20:23], null offen
	buffer_atomic_pk_add_f16 v8, v9, s[20:23], s24 offen
	ds_load_b64 v[7:8], v0 offset:8
	v_cndmask_b32_e64 v9, 0x80000008, 8, s8
	s_and_b32 s8, s7, s1
	s_delay_alu instid0(VALU_DEP_1)
	v_add_nc_u32_e32 v9, v19, v9
	s_wait_dscnt 0x0
	s_clause 0x1
	buffer_atomic_pk_add_f16 v7, v9, s[20:23], null offen
	buffer_atomic_pk_add_f16 v8, v9, s[20:23], s24 offen
	s_wait_dscnt 0x0
	s_barrier_signal -1
	s_barrier_wait -1
	s_clause 0x1
	scratch_load_b128 v[7:10], off, off offset:2496
	scratch_load_b128 v[11:14], off, off offset:2512
	s_wait_loadcnt 0x1
	v_cvt_f16_f32_e32 v7, v7
	v_cvt_f16_f32_e32 v8, v8
	;; [unrolled: 1-line block ×4, first 2 shown]
	s_wait_loadcnt 0x0
	v_cvt_f16_f32_e32 v11, v11
	v_cvt_f16_f32_e32 v12, v12
	;; [unrolled: 1-line block ×4, first 2 shown]
	ds_store_b16 v1, v7
	ds_store_b16 v1, v8 offset:128
	ds_store_b16 v1, v9 offset:256
	;; [unrolled: 1-line block ×7, first 2 shown]
	s_wait_dscnt 0x0
	s_barrier_signal -1
	s_barrier_wait -1
	ds_load_b64 v[8:9], v0
	v_mov_b32_e32 v7, 0x80
	s_delay_alu instid0(VALU_DEP_1) | instskip(SKIP_1) | instid1(VALU_DEP_1)
	v_cndmask_b32_e64 v10, 0x80000080, v7, s8
	s_and_b32 s8, s7, s2
	v_add_nc_u32_e32 v10, v19, v10
	s_wait_dscnt 0x0
	s_clause 0x1
	buffer_atomic_pk_add_f16 v8, v10, s[20:23], null offen
	buffer_atomic_pk_add_f16 v9, v10, s[20:23], s24 offen
	ds_load_b64 v[9:10], v0 offset:8
	v_mov_b32_e32 v8, 0x88
	s_delay_alu instid0(VALU_DEP_1) | instskip(SKIP_1) | instid1(VALU_DEP_1)
	v_cndmask_b32_e64 v11, 0x80000088, v8, s8
	s_and_b32 s8, s7, s3
	v_add_nc_u32_e32 v11, v19, v11
	s_wait_dscnt 0x0
	s_clause 0x1
	buffer_atomic_pk_add_f16 v9, v11, s[20:23], null offen
	buffer_atomic_pk_add_f16 v10, v11, s[20:23], s24 offen
	s_wait_dscnt 0x0
	s_barrier_signal -1
	s_barrier_wait -1
	s_clause 0x1
	scratch_load_b128 v[9:12], off, off offset:2528
	scratch_load_b128 v[13:16], off, off offset:2544
	s_wait_loadcnt 0x1
	v_cvt_f16_f32_e32 v9, v9
	v_cvt_f16_f32_e32 v10, v10
	;; [unrolled: 1-line block ×4, first 2 shown]
	s_wait_loadcnt 0x0
	v_cvt_f16_f32_e32 v13, v13
	v_cvt_f16_f32_e32 v14, v14
	;; [unrolled: 1-line block ×4, first 2 shown]
	ds_store_b16 v1, v9
	ds_store_b16 v1, v10 offset:128
	ds_store_b16 v1, v11 offset:256
	;; [unrolled: 1-line block ×7, first 2 shown]
	s_wait_dscnt 0x0
	s_barrier_signal -1
	s_barrier_wait -1
	ds_load_b64 v[10:11], v0
	v_mov_b32_e32 v9, 0x100
	s_delay_alu instid0(VALU_DEP_1) | instskip(SKIP_1) | instid1(VALU_DEP_1)
	v_cndmask_b32_e64 v12, 0x80000100, v9, s8
	s_and_b32 s8, s7, s4
	v_add_nc_u32_e32 v12, v19, v12
	s_wait_dscnt 0x0
	s_clause 0x1
	buffer_atomic_pk_add_f16 v10, v12, s[20:23], null offen
	buffer_atomic_pk_add_f16 v11, v12, s[20:23], s24 offen
	ds_load_b64 v[11:12], v0 offset:8
	v_mov_b32_e32 v10, 0x108
	s_delay_alu instid0(VALU_DEP_1) | instskip(SKIP_2) | instid1(VALU_DEP_1)
	v_cndmask_b32_e64 v13, 0x80000108, v10, s8
	s_and_b32 s8, s7, s5
	s_and_b32 s7, s7, s6
	v_add_nc_u32_e32 v13, v19, v13
	s_wait_dscnt 0x0
	s_clause 0x1
	buffer_atomic_pk_add_f16 v11, v13, s[20:23], null offen
	buffer_atomic_pk_add_f16 v12, v13, s[20:23], s24 offen
	s_wait_dscnt 0x0
	s_barrier_signal -1
	s_barrier_wait -1
	s_clause 0x1
	scratch_load_b128 v[11:14], off, off offset:2560
	scratch_load_b128 v[15:18], off, off offset:2576
	s_wait_loadcnt 0x1
	v_cvt_f16_f32_e32 v11, v11
	v_cvt_f16_f32_e32 v12, v12
	;; [unrolled: 1-line block ×4, first 2 shown]
	s_wait_loadcnt 0x0
	v_cvt_f16_f32_e32 v15, v15
	v_cvt_f16_f32_e32 v16, v16
	;; [unrolled: 1-line block ×4, first 2 shown]
	ds_store_b16 v1, v11
	ds_store_b16 v1, v12 offset:128
	ds_store_b16 v1, v13 offset:256
	;; [unrolled: 1-line block ×7, first 2 shown]
	s_wait_dscnt 0x0
	s_barrier_signal -1
	s_barrier_wait -1
	ds_load_b64 v[11:12], v0
	v_cndmask_b32_e64 v13, 0x80000000, 0, s8
	s_delay_alu instid0(VALU_DEP_1)
	v_lshl_add_u32 v13, v21, 1, v13
	s_wait_dscnt 0x0
	s_clause 0x1
	buffer_atomic_pk_add_f16 v11, v13, s[20:23], null offen
	buffer_atomic_pk_add_f16 v12, v13, s[20:23], s24 offen
	ds_load_b64 v[12:13], v0 offset:8
	v_mov_b32_e32 v11, 0x188
	v_add_lshl_u32 v21, v21, s9, 1
	s_delay_alu instid0(VALU_DEP_2) | instskip(SKIP_1) | instid1(VALU_DEP_2)
	v_cndmask_b32_e64 v14, 0x80000188, v11, s7
	v_cmp_gt_i32_e64 s7, s16, v22
	v_add_nc_u32_e32 v14, v19, v14
	s_wait_dscnt 0x0
	s_clause 0x1
	buffer_atomic_pk_add_f16 v12, v14, s[20:23], null offen
	buffer_atomic_pk_add_f16 v13, v14, s[20:23], s24 offen
	s_wait_dscnt 0x0
	s_barrier_signal -1
	s_barrier_wait -1
	s_clause 0x1
	scratch_load_b128 v[12:15], off, off offset:2688
	scratch_load_b128 v[16:19], off, off offset:2704
	s_and_b32 s8, s7, s5
	s_wait_loadcnt 0x1
	v_cvt_f16_f32_e32 v12, v12
	v_cvt_f16_f32_e32 v13, v13
	;; [unrolled: 1-line block ×4, first 2 shown]
	s_wait_loadcnt 0x0
	v_cvt_f16_f32_e32 v16, v16
	v_cvt_f16_f32_e32 v17, v17
	;; [unrolled: 1-line block ×4, first 2 shown]
	ds_store_b16 v1, v12
	ds_store_b16 v1, v13 offset:128
	ds_store_b16 v1, v14 offset:256
	;; [unrolled: 1-line block ×7, first 2 shown]
	s_wait_dscnt 0x0
	s_barrier_signal -1
	s_barrier_wait -1
	ds_load_b64 v[12:13], v0
	s_wait_alu 0xfffe
	v_cndmask_b32_e64 v14, 0x80000000, 0, s8
	s_and_b32 s8, s7, s6
	s_delay_alu instid0(VALU_DEP_1)
	v_add_nc_u32_e32 v14, v21, v14
	s_wait_dscnt 0x0
	s_clause 0x1
	buffer_atomic_pk_add_f16 v12, v14, s[20:23], null offen
	buffer_atomic_pk_add_f16 v13, v14, s[20:23], s24 offen
	ds_load_b64 v[12:13], v0 offset:8
	v_cndmask_b32_e64 v14, 0x80000008, 8, s8
	s_and_b32 s8, s7, s3
	s_delay_alu instid0(VALU_DEP_1)
	v_add_nc_u32_e32 v14, v21, v14
	s_wait_dscnt 0x0
	s_clause 0x1
	buffer_atomic_pk_add_f16 v12, v14, s[20:23], null offen
	buffer_atomic_pk_add_f16 v13, v14, s[20:23], s24 offen
	s_wait_dscnt 0x0
	s_barrier_signal -1
	s_barrier_wait -1
	s_clause 0x1
	scratch_load_b128 v[12:15], off, off offset:2656
	scratch_load_b128 v[16:19], off, off offset:2672
	s_wait_loadcnt 0x1
	v_cvt_f16_f32_e32 v12, v12
	v_cvt_f16_f32_e32 v13, v13
	;; [unrolled: 1-line block ×4, first 2 shown]
	s_wait_loadcnt 0x0
	v_cvt_f16_f32_e32 v16, v16
	v_cvt_f16_f32_e32 v17, v17
	;; [unrolled: 1-line block ×4, first 2 shown]
	ds_store_b16 v1, v12
	ds_store_b16 v1, v13 offset:128
	ds_store_b16 v1, v14 offset:256
	;; [unrolled: 1-line block ×7, first 2 shown]
	s_wait_dscnt 0x0
	s_barrier_signal -1
	s_barrier_wait -1
	ds_load_b64 v[12:13], v0
	v_cndmask_b32_e64 v14, 0x7fffff80, v3, s8
	s_and_b32 s8, s7, s4
	s_delay_alu instid0(VALU_DEP_1)
	v_add_nc_u32_e32 v14, v21, v14
	s_wait_dscnt 0x0
	s_clause 0x1
	buffer_atomic_pk_add_f16 v12, v14, s[20:23], null offen
	buffer_atomic_pk_add_f16 v13, v14, s[20:23], s24 offen
	ds_load_b64 v[12:13], v0 offset:8
	v_cndmask_b32_e64 v14, 0x7fffff88, v4, s8
	s_and_b32 s8, s7, s1
	s_delay_alu instid0(VALU_DEP_1)
	v_add_nc_u32_e32 v14, v21, v14
	s_wait_dscnt 0x0
	s_clause 0x1
	buffer_atomic_pk_add_f16 v12, v14, s[20:23], null offen
	buffer_atomic_pk_add_f16 v13, v14, s[20:23], s24 offen
	s_wait_dscnt 0x0
	s_barrier_signal -1
	s_barrier_wait -1
	s_clause 0x1
	scratch_load_b128 v[12:15], off, off offset:2624
	scratch_load_b128 v[16:19], off, off offset:2640
	s_wait_loadcnt 0x1
	v_cvt_f16_f32_e32 v12, v12
	v_cvt_f16_f32_e32 v13, v13
	;; [unrolled: 1-line block ×4, first 2 shown]
	s_wait_loadcnt 0x0
	v_cvt_f16_f32_e32 v16, v16
	v_cvt_f16_f32_e32 v17, v17
	;; [unrolled: 1-line block ×4, first 2 shown]
	ds_store_b16 v1, v12
	ds_store_b16 v1, v13 offset:128
	ds_store_b16 v1, v14 offset:256
	;; [unrolled: 1-line block ×7, first 2 shown]
	s_wait_dscnt 0x0
	s_barrier_signal -1
	s_barrier_wait -1
	ds_load_b64 v[12:13], v0
	v_cndmask_b32_e64 v14, 0x7fffff00, v5, s8
	s_and_b32 s8, s7, s2
	s_delay_alu instid0(VALU_DEP_1)
	v_add_nc_u32_e32 v14, v21, v14
	s_wait_dscnt 0x0
	s_clause 0x1
	buffer_atomic_pk_add_f16 v12, v14, s[20:23], null offen
	buffer_atomic_pk_add_f16 v13, v14, s[20:23], s24 offen
	ds_load_b64 v[12:13], v0 offset:8
	v_cndmask_b32_e64 v14, 0x7fffff08, v6, s8
	s_and_b32 s8, vcc_lo, s7
	s_and_b32 s7, s7, s0
	s_delay_alu instid0(VALU_DEP_1)
	v_add_nc_u32_e32 v14, v21, v14
	s_wait_dscnt 0x0
	s_clause 0x1
	buffer_atomic_pk_add_f16 v12, v14, s[20:23], null offen
	buffer_atomic_pk_add_f16 v13, v14, s[20:23], s24 offen
	s_wait_dscnt 0x0
	s_barrier_signal -1
	s_barrier_wait -1
	s_clause 0x1
	scratch_load_b128 v[12:15], off, off offset:2592
	scratch_load_b128 v[16:19], off, off offset:2608
	v_or_b32_e32 v21, 0x80, v2
	s_wait_loadcnt 0x1
	v_cvt_f16_f32_e32 v12, v12
	v_cvt_f16_f32_e32 v13, v13
	;; [unrolled: 1-line block ×4, first 2 shown]
	s_wait_loadcnt 0x0
	v_cvt_f16_f32_e32 v16, v16
	v_cvt_f16_f32_e32 v17, v17
	;; [unrolled: 1-line block ×4, first 2 shown]
	ds_store_b16 v1, v12
	ds_store_b16 v1, v13 offset:128
	ds_store_b16 v1, v14 offset:256
	ds_store_b16 v1, v15 offset:384
	ds_store_b16 v1, v16 offset:512
	ds_store_b16 v1, v17 offset:640
	ds_store_b16 v1, v18 offset:768
	ds_store_b16 v1, v19 offset:896
	s_wait_dscnt 0x0
	s_barrier_signal -1
	s_barrier_wait -1
	ds_load_b64 v[12:13], v0
	v_cndmask_b32_e64 v14, 0x80000000, 0, s8
	v_lshlrev_b32_e32 v15, 1, v20
	v_add_nc_u32_e32 v20, s9, v20
	s_delay_alu instid0(VALU_DEP_2)
	v_add_nc_u32_e32 v14, v15, v14
	s_wait_dscnt 0x0
	s_clause 0x1
	buffer_atomic_pk_add_f16 v12, v14, s[20:23], null offen
	buffer_atomic_pk_add_f16 v13, v14, s[20:23], s24 offen
	ds_load_b64 v[12:13], v0 offset:8
	v_cndmask_b32_e64 v14, 0x80000008, 8, s7
	v_cmp_gt_i32_e64 s7, s16, v21
	v_lshlrev_b32_e32 v21, 1, v20
	v_add_nc_u32_e32 v22, 0xc0, v20
	v_add_nc_u32_e32 v20, s9, v20
	;; [unrolled: 1-line block ×3, first 2 shown]
	s_wait_dscnt 0x0
	s_clause 0x1
	buffer_atomic_pk_add_f16 v12, v14, s[20:23], null offen
	buffer_atomic_pk_add_f16 v13, v14, s[20:23], s24 offen
	s_wait_dscnt 0x0
	s_barrier_signal -1
	s_barrier_wait -1
	s_clause 0x1
	scratch_load_b128 v[12:15], off, off offset:2720
	scratch_load_b128 v[16:19], off, off offset:2736
	s_and_b32 s8, vcc_lo, s7
	s_wait_loadcnt 0x1
	v_cvt_f16_f32_e32 v12, v12
	v_cvt_f16_f32_e32 v13, v13
	v_cvt_f16_f32_e32 v14, v14
	v_cvt_f16_f32_e32 v15, v15
	s_wait_loadcnt 0x0
	v_cvt_f16_f32_e32 v16, v16
	v_cvt_f16_f32_e32 v17, v17
	;; [unrolled: 1-line block ×4, first 2 shown]
	ds_store_b16 v1, v12
	ds_store_b16 v1, v13 offset:128
	ds_store_b16 v1, v14 offset:256
	;; [unrolled: 1-line block ×7, first 2 shown]
	s_wait_dscnt 0x0
	s_barrier_signal -1
	s_barrier_wait -1
	ds_load_b64 v[12:13], v0
	s_wait_alu 0xfffe
	v_cndmask_b32_e64 v14, 0x80000000, 0, s8
	s_and_b32 s8, s7, s0
	s_delay_alu instid0(VALU_DEP_1)
	v_add_nc_u32_e32 v14, v21, v14
	s_wait_dscnt 0x0
	s_clause 0x1
	buffer_atomic_pk_add_f16 v12, v14, s[20:23], null offen
	buffer_atomic_pk_add_f16 v13, v14, s[20:23], s24 offen
	ds_load_b64 v[12:13], v0 offset:8
	v_cndmask_b32_e64 v14, 0x80000008, 8, s8
	s_and_b32 s8, s7, s1
	s_delay_alu instid0(VALU_DEP_1)
	v_add_nc_u32_e32 v14, v21, v14
	s_wait_dscnt 0x0
	s_clause 0x1
	buffer_atomic_pk_add_f16 v12, v14, s[20:23], null offen
	buffer_atomic_pk_add_f16 v13, v14, s[20:23], s24 offen
	s_wait_dscnt 0x0
	s_barrier_signal -1
	s_barrier_wait -1
	s_clause 0x1
	scratch_load_b128 v[12:15], off, off offset:2752
	scratch_load_b128 v[16:19], off, off offset:2768
	s_wait_loadcnt 0x1
	v_cvt_f16_f32_e32 v12, v12
	v_cvt_f16_f32_e32 v13, v13
	v_cvt_f16_f32_e32 v14, v14
	v_cvt_f16_f32_e32 v15, v15
	s_wait_loadcnt 0x0
	v_cvt_f16_f32_e32 v16, v16
	v_cvt_f16_f32_e32 v17, v17
	;; [unrolled: 1-line block ×4, first 2 shown]
	ds_store_b16 v1, v12
	ds_store_b16 v1, v13 offset:128
	ds_store_b16 v1, v14 offset:256
	;; [unrolled: 1-line block ×7, first 2 shown]
	s_wait_dscnt 0x0
	s_barrier_signal -1
	s_barrier_wait -1
	ds_load_b64 v[12:13], v0
	v_cndmask_b32_e64 v14, 0x80000080, v7, s8
	s_and_b32 s8, s7, s2
	s_delay_alu instid0(VALU_DEP_1)
	v_add_nc_u32_e32 v14, v21, v14
	s_wait_dscnt 0x0
	s_clause 0x1
	buffer_atomic_pk_add_f16 v12, v14, s[20:23], null offen
	buffer_atomic_pk_add_f16 v13, v14, s[20:23], s24 offen
	ds_load_b64 v[12:13], v0 offset:8
	v_cndmask_b32_e64 v14, 0x80000088, v8, s8
	s_and_b32 s8, s7, s3
	s_delay_alu instid0(VALU_DEP_1)
	v_add_nc_u32_e32 v14, v21, v14
	s_wait_dscnt 0x0
	s_clause 0x1
	buffer_atomic_pk_add_f16 v12, v14, s[20:23], null offen
	buffer_atomic_pk_add_f16 v13, v14, s[20:23], s24 offen
	s_wait_dscnt 0x0
	s_barrier_signal -1
	s_barrier_wait -1
	s_clause 0x1
	scratch_load_b128 v[12:15], off, off offset:2784
	scratch_load_b128 v[16:19], off, off offset:2800
	s_wait_loadcnt 0x1
	v_cvt_f16_f32_e32 v12, v12
	v_cvt_f16_f32_e32 v13, v13
	;; [unrolled: 1-line block ×4, first 2 shown]
	s_wait_loadcnt 0x0
	v_cvt_f16_f32_e32 v16, v16
	v_cvt_f16_f32_e32 v17, v17
	;; [unrolled: 1-line block ×4, first 2 shown]
	ds_store_b16 v1, v12
	ds_store_b16 v1, v13 offset:128
	ds_store_b16 v1, v14 offset:256
	;; [unrolled: 1-line block ×7, first 2 shown]
	s_wait_dscnt 0x0
	s_barrier_signal -1
	s_barrier_wait -1
	ds_load_b64 v[12:13], v0
	v_cndmask_b32_e64 v14, 0x80000100, v9, s8
	s_and_b32 s8, s7, s4
	s_delay_alu instid0(VALU_DEP_1)
	v_add_nc_u32_e32 v14, v21, v14
	s_wait_dscnt 0x0
	s_clause 0x1
	buffer_atomic_pk_add_f16 v12, v14, s[20:23], null offen
	buffer_atomic_pk_add_f16 v13, v14, s[20:23], s24 offen
	ds_load_b64 v[12:13], v0 offset:8
	v_cndmask_b32_e64 v14, 0x80000108, v10, s8
	s_and_b32 s8, s7, s5
	s_and_b32 s7, s7, s6
	s_delay_alu instid0(VALU_DEP_1)
	v_add_nc_u32_e32 v14, v21, v14
	s_wait_dscnt 0x0
	s_clause 0x1
	buffer_atomic_pk_add_f16 v12, v14, s[20:23], null offen
	buffer_atomic_pk_add_f16 v13, v14, s[20:23], s24 offen
	s_wait_dscnt 0x0
	s_barrier_signal -1
	s_barrier_wait -1
	s_clause 0x1
	scratch_load_b128 v[12:15], off, off offset:2816
	scratch_load_b128 v[16:19], off, off offset:2832
	s_wait_loadcnt 0x1
	v_cvt_f16_f32_e32 v12, v12
	v_cvt_f16_f32_e32 v13, v13
	;; [unrolled: 1-line block ×4, first 2 shown]
	s_wait_loadcnt 0x0
	v_cvt_f16_f32_e32 v16, v16
	v_cvt_f16_f32_e32 v17, v17
	v_cvt_f16_f32_e32 v18, v18
	v_cvt_f16_f32_e32 v19, v19
	ds_store_b16 v1, v12
	ds_store_b16 v1, v13 offset:128
	ds_store_b16 v1, v14 offset:256
	;; [unrolled: 1-line block ×7, first 2 shown]
	s_wait_dscnt 0x0
	s_barrier_signal -1
	s_barrier_wait -1
	ds_load_b64 v[12:13], v0
	v_cndmask_b32_e64 v14, 0x80000000, 0, s8
	s_delay_alu instid0(VALU_DEP_1)
	v_lshl_add_u32 v14, v22, 1, v14
	s_wait_dscnt 0x0
	s_clause 0x1
	buffer_atomic_pk_add_f16 v12, v14, s[20:23], null offen
	buffer_atomic_pk_add_f16 v13, v14, s[20:23], s24 offen
	ds_load_b64 v[12:13], v0 offset:8
	v_cndmask_b32_e64 v14, 0x80000188, v11, s7
	s_delay_alu instid0(VALU_DEP_1)
	v_add_nc_u32_e32 v14, v21, v14
	s_wait_dscnt 0x0
	s_clause 0x1
	buffer_atomic_pk_add_f16 v12, v14, s[20:23], null offen
	buffer_atomic_pk_add_f16 v13, v14, s[20:23], s24 offen
	s_wait_dscnt 0x0
	s_barrier_signal -1
	s_barrier_wait -1
	s_clause 0x1
	scratch_load_b128 v[12:15], off, off offset:2944
	scratch_load_b128 v[16:19], off, off offset:2960
	v_or_b32_e32 v21, 0xa0, v2
	s_delay_alu instid0(VALU_DEP_1)
	v_cmp_gt_i32_e64 s7, s16, v21
	v_add_lshl_u32 v21, v22, s9, 1
	s_and_b32 s8, s7, s5
	s_wait_loadcnt 0x1
	v_cvt_f16_f32_e32 v12, v12
	v_cvt_f16_f32_e32 v13, v13
	;; [unrolled: 1-line block ×4, first 2 shown]
	s_wait_loadcnt 0x0
	v_cvt_f16_f32_e32 v16, v16
	v_cvt_f16_f32_e32 v17, v17
	;; [unrolled: 1-line block ×4, first 2 shown]
	ds_store_b16 v1, v12
	ds_store_b16 v1, v13 offset:128
	ds_store_b16 v1, v14 offset:256
	;; [unrolled: 1-line block ×7, first 2 shown]
	s_wait_dscnt 0x0
	s_barrier_signal -1
	s_barrier_wait -1
	ds_load_b64 v[12:13], v0
	s_wait_alu 0xfffe
	v_cndmask_b32_e64 v14, 0x80000000, 0, s8
	s_and_b32 s8, s7, s6
	s_delay_alu instid0(VALU_DEP_1)
	v_add_nc_u32_e32 v14, v21, v14
	s_wait_dscnt 0x0
	s_clause 0x1
	buffer_atomic_pk_add_f16 v12, v14, s[20:23], null offen
	buffer_atomic_pk_add_f16 v13, v14, s[20:23], s24 offen
	ds_load_b64 v[12:13], v0 offset:8
	v_cndmask_b32_e64 v14, 0x80000008, 8, s8
	s_and_b32 s8, s7, s3
	s_delay_alu instid0(VALU_DEP_1)
	v_add_nc_u32_e32 v14, v21, v14
	s_wait_dscnt 0x0
	s_clause 0x1
	buffer_atomic_pk_add_f16 v12, v14, s[20:23], null offen
	buffer_atomic_pk_add_f16 v13, v14, s[20:23], s24 offen
	s_wait_dscnt 0x0
	s_barrier_signal -1
	s_barrier_wait -1
	s_clause 0x1
	scratch_load_b128 v[12:15], off, off offset:2912
	scratch_load_b128 v[16:19], off, off offset:2928
	s_wait_loadcnt 0x1
	v_cvt_f16_f32_e32 v12, v12
	v_cvt_f16_f32_e32 v13, v13
	;; [unrolled: 1-line block ×4, first 2 shown]
	s_wait_loadcnt 0x0
	v_cvt_f16_f32_e32 v16, v16
	v_cvt_f16_f32_e32 v17, v17
	;; [unrolled: 1-line block ×4, first 2 shown]
	ds_store_b16 v1, v12
	ds_store_b16 v1, v13 offset:128
	ds_store_b16 v1, v14 offset:256
	;; [unrolled: 1-line block ×7, first 2 shown]
	s_wait_dscnt 0x0
	s_barrier_signal -1
	s_barrier_wait -1
	ds_load_b64 v[12:13], v0
	v_cndmask_b32_e64 v14, 0x7fffff80, v3, s8
	s_and_b32 s8, s7, s4
	s_delay_alu instid0(VALU_DEP_1)
	v_add_nc_u32_e32 v14, v21, v14
	s_wait_dscnt 0x0
	s_clause 0x1
	buffer_atomic_pk_add_f16 v12, v14, s[20:23], null offen
	buffer_atomic_pk_add_f16 v13, v14, s[20:23], s24 offen
	ds_load_b64 v[12:13], v0 offset:8
	v_cndmask_b32_e64 v14, 0x7fffff88, v4, s8
	s_and_b32 s8, s7, s1
	s_delay_alu instid0(VALU_DEP_1)
	v_add_nc_u32_e32 v14, v21, v14
	s_wait_dscnt 0x0
	s_clause 0x1
	buffer_atomic_pk_add_f16 v12, v14, s[20:23], null offen
	buffer_atomic_pk_add_f16 v13, v14, s[20:23], s24 offen
	s_wait_dscnt 0x0
	s_barrier_signal -1
	s_barrier_wait -1
	s_clause 0x1
	scratch_load_b128 v[12:15], off, off offset:2880
	scratch_load_b128 v[16:19], off, off offset:2896
	s_wait_loadcnt 0x1
	v_cvt_f16_f32_e32 v12, v12
	v_cvt_f16_f32_e32 v13, v13
	;; [unrolled: 1-line block ×4, first 2 shown]
	s_wait_loadcnt 0x0
	v_cvt_f16_f32_e32 v16, v16
	v_cvt_f16_f32_e32 v17, v17
	v_cvt_f16_f32_e32 v18, v18
	v_cvt_f16_f32_e32 v19, v19
	ds_store_b16 v1, v12
	ds_store_b16 v1, v13 offset:128
	ds_store_b16 v1, v14 offset:256
	;; [unrolled: 1-line block ×7, first 2 shown]
	s_wait_dscnt 0x0
	s_barrier_signal -1
	s_barrier_wait -1
	ds_load_b64 v[12:13], v0
	v_cndmask_b32_e64 v14, 0x7fffff00, v5, s8
	s_and_b32 s8, s7, s2
	s_delay_alu instid0(VALU_DEP_1)
	v_add_nc_u32_e32 v14, v21, v14
	s_wait_dscnt 0x0
	s_clause 0x1
	buffer_atomic_pk_add_f16 v12, v14, s[20:23], null offen
	buffer_atomic_pk_add_f16 v13, v14, s[20:23], s24 offen
	ds_load_b64 v[12:13], v0 offset:8
	v_cndmask_b32_e64 v14, 0x7fffff08, v6, s8
	s_and_b32 s8, vcc_lo, s7
	s_and_b32 s7, s7, s0
	s_delay_alu instid0(VALU_DEP_1)
	v_add_nc_u32_e32 v14, v21, v14
	s_wait_dscnt 0x0
	s_clause 0x1
	buffer_atomic_pk_add_f16 v12, v14, s[20:23], null offen
	buffer_atomic_pk_add_f16 v13, v14, s[20:23], s24 offen
	s_wait_dscnt 0x0
	s_barrier_signal -1
	s_barrier_wait -1
	s_clause 0x1
	scratch_load_b128 v[12:15], off, off offset:2848
	scratch_load_b128 v[16:19], off, off offset:2864
	v_or_b32_e32 v21, 0xc0, v2
	v_or_b32_e32 v2, 0xe0, v2
	s_wait_loadcnt 0x1
	v_cvt_f16_f32_e32 v12, v12
	v_cvt_f16_f32_e32 v13, v13
	;; [unrolled: 1-line block ×4, first 2 shown]
	s_wait_loadcnt 0x0
	v_cvt_f16_f32_e32 v16, v16
	v_cvt_f16_f32_e32 v17, v17
	;; [unrolled: 1-line block ×4, first 2 shown]
	ds_store_b16 v1, v12
	ds_store_b16 v1, v13 offset:128
	ds_store_b16 v1, v14 offset:256
	;; [unrolled: 1-line block ×7, first 2 shown]
	s_wait_dscnt 0x0
	s_barrier_signal -1
	s_barrier_wait -1
	ds_load_b64 v[12:13], v0
	v_cndmask_b32_e64 v14, 0x80000000, 0, s8
	v_lshlrev_b32_e32 v15, 1, v20
	v_add_nc_u32_e32 v20, s9, v20
	s_delay_alu instid0(VALU_DEP_2)
	v_add_nc_u32_e32 v14, v15, v14
	s_wait_dscnt 0x0
	s_clause 0x1
	buffer_atomic_pk_add_f16 v12, v14, s[20:23], null offen
	buffer_atomic_pk_add_f16 v13, v14, s[20:23], s24 offen
	ds_load_b64 v[12:13], v0 offset:8
	v_cndmask_b32_e64 v14, 0x80000008, 8, s7
	v_cmp_gt_i32_e64 s7, s16, v21
	v_lshlrev_b32_e32 v21, 1, v20
	s_delay_alu instid0(VALU_DEP_3)
	v_add_nc_u32_e32 v14, v15, v14
	s_wait_dscnt 0x0
	s_clause 0x1
	buffer_atomic_pk_add_f16 v12, v14, s[20:23], null offen
	buffer_atomic_pk_add_f16 v13, v14, s[20:23], s24 offen
	s_wait_dscnt 0x0
	s_barrier_signal -1
	s_barrier_wait -1
	s_clause 0x1
	scratch_load_b128 v[12:15], off, off offset:2976
	scratch_load_b128 v[16:19], off, off offset:2992
	s_and_b32 s8, vcc_lo, s7
	s_wait_loadcnt 0x1
	v_cvt_f16_f32_e32 v12, v12
	v_cvt_f16_f32_e32 v13, v13
	;; [unrolled: 1-line block ×4, first 2 shown]
	s_wait_loadcnt 0x0
	v_cvt_f16_f32_e32 v16, v16
	v_cvt_f16_f32_e32 v17, v17
	;; [unrolled: 1-line block ×4, first 2 shown]
	ds_store_b16 v1, v12
	ds_store_b16 v1, v13 offset:128
	ds_store_b16 v1, v14 offset:256
	;; [unrolled: 1-line block ×7, first 2 shown]
	s_wait_dscnt 0x0
	s_barrier_signal -1
	s_barrier_wait -1
	ds_load_b64 v[12:13], v0
	s_wait_alu 0xfffe
	v_cndmask_b32_e64 v14, 0x80000000, 0, s8
	s_and_b32 s8, s7, s0
	s_delay_alu instid0(VALU_DEP_1)
	v_add_nc_u32_e32 v14, v21, v14
	s_wait_dscnt 0x0
	s_clause 0x1
	buffer_atomic_pk_add_f16 v12, v14, s[20:23], null offen
	buffer_atomic_pk_add_f16 v13, v14, s[20:23], s24 offen
	ds_load_b64 v[12:13], v0 offset:8
	v_cndmask_b32_e64 v14, 0x80000008, 8, s8
	s_and_b32 s8, s7, s1
	s_wait_alu 0xfffe
	v_cndmask_b32_e64 v7, 0x80000080, v7, s8
	s_and_b32 s8, s7, s2
	v_add_nc_u32_e32 v14, v21, v14
	s_wait_dscnt 0x0
	s_clause 0x1
	buffer_atomic_pk_add_f16 v12, v14, s[20:23], null offen
	buffer_atomic_pk_add_f16 v13, v14, s[20:23], s24 offen
	s_wait_dscnt 0x0
	s_barrier_signal -1
	s_barrier_wait -1
	s_clause 0x1
	scratch_load_b128 v[12:15], off, off offset:3008
	scratch_load_b128 v[16:19], off, off offset:3024
	v_add_nc_u32_e32 v7, v21, v7
	s_wait_loadcnt 0x1
	v_cvt_f16_f32_e32 v12, v12
	v_cvt_f16_f32_e32 v13, v13
	;; [unrolled: 1-line block ×4, first 2 shown]
	s_wait_loadcnt 0x0
	v_cvt_f16_f32_e32 v16, v16
	v_cvt_f16_f32_e32 v17, v17
	;; [unrolled: 1-line block ×4, first 2 shown]
	ds_store_b16 v1, v12
	ds_store_b16 v1, v13 offset:128
	ds_store_b16 v1, v14 offset:256
	;; [unrolled: 1-line block ×7, first 2 shown]
	s_wait_dscnt 0x0
	s_barrier_signal -1
	s_barrier_wait -1
	ds_load_b64 v[12:13], v0
	s_wait_dscnt 0x0
	s_clause 0x1
	buffer_atomic_pk_add_f16 v12, v7, s[20:23], null offen
	buffer_atomic_pk_add_f16 v13, v7, s[20:23], s24 offen
	ds_load_b64 v[12:13], v0 offset:8
	v_cndmask_b32_e64 v7, 0x80000088, v8, s8
	s_and_b32 s8, s7, s3
	s_wait_alu 0xfffe
	v_cndmask_b32_e64 v9, 0x80000100, v9, s8
	s_and_b32 s8, s7, s4
	v_add_nc_u32_e32 v7, v21, v7
	s_wait_dscnt 0x0
	s_clause 0x1
	buffer_atomic_pk_add_f16 v12, v7, s[20:23], null offen
	buffer_atomic_pk_add_f16 v13, v7, s[20:23], s24 offen
	s_wait_dscnt 0x0
	s_barrier_signal -1
	s_barrier_wait -1
	s_clause 0x1
	scratch_load_b128 v[12:15], off, off offset:3040
	scratch_load_b128 v[16:19], off, off offset:3056
	v_add_nc_u32_e32 v9, v21, v9
	s_wait_loadcnt 0x1
	v_cvt_f16_f32_e32 v7, v12
	v_cvt_f16_f32_e32 v8, v13
	;; [unrolled: 1-line block ×4, first 2 shown]
	s_wait_loadcnt 0x0
	v_cvt_f16_f32_e32 v14, v16
	v_cvt_f16_f32_e32 v15, v17
	;; [unrolled: 1-line block ×4, first 2 shown]
	ds_store_b16 v1, v7
	ds_store_b16 v1, v8 offset:128
	ds_store_b16 v1, v12 offset:256
	;; [unrolled: 1-line block ×7, first 2 shown]
	s_wait_dscnt 0x0
	s_barrier_signal -1
	s_barrier_wait -1
	ds_load_b64 v[7:8], v0
	s_wait_dscnt 0x0
	s_clause 0x1
	buffer_atomic_pk_add_f16 v7, v9, s[20:23], null offen
	buffer_atomic_pk_add_f16 v8, v9, s[20:23], s24 offen
	ds_load_b64 v[7:8], v0 offset:8
	v_cndmask_b32_e64 v9, 0x80000108, v10, s8
	s_and_b32 s8, s7, s5
	s_and_b32 s7, s7, s6
	s_delay_alu instid0(VALU_DEP_1)
	v_add_nc_u32_e32 v9, v21, v9
	s_wait_dscnt 0x0
	s_clause 0x1
	buffer_atomic_pk_add_f16 v7, v9, s[20:23], null offen
	buffer_atomic_pk_add_f16 v8, v9, s[20:23], s24 offen
	s_wait_dscnt 0x0
	s_barrier_signal -1
	s_barrier_wait -1
	s_clause 0x1
	scratch_load_b128 v[7:10], off, off offset:3072
	scratch_load_b128 v[12:15], off, off offset:3088
	s_wait_loadcnt 0x1
	v_cvt_f16_f32_e32 v7, v7
	v_cvt_f16_f32_e32 v8, v8
	;; [unrolled: 1-line block ×4, first 2 shown]
	s_wait_loadcnt 0x0
	v_cvt_f16_f32_e32 v12, v12
	v_cvt_f16_f32_e32 v13, v13
	;; [unrolled: 1-line block ×4, first 2 shown]
	ds_store_b16 v1, v7
	ds_store_b16 v1, v8 offset:128
	ds_store_b16 v1, v9 offset:256
	;; [unrolled: 1-line block ×7, first 2 shown]
	s_wait_dscnt 0x0
	s_barrier_signal -1
	s_barrier_wait -1
	ds_load_b64 v[7:8], v0
	v_cndmask_b32_e64 v9, 0x80000000, 0, s8
	v_add_nc_u32_e32 v15, 0xc0, v20
	s_delay_alu instid0(VALU_DEP_1)
	v_lshl_add_u32 v9, v15, 1, v9
	s_wait_dscnt 0x0
	s_clause 0x1
	buffer_atomic_pk_add_f16 v7, v9, s[20:23], null offen
	buffer_atomic_pk_add_f16 v8, v9, s[20:23], s24 offen
	ds_load_b64 v[7:8], v0 offset:8
	v_cndmask_b32_e64 v9, 0x80000188, v11, s7
	v_cmp_gt_i32_e64 s7, s16, v2
	v_add_lshl_u32 v15, v15, s9, 1
	s_delay_alu instid0(VALU_DEP_3)
	v_add_nc_u32_e32 v9, v21, v9
	s_wait_dscnt 0x0
	s_clause 0x1
	buffer_atomic_pk_add_f16 v7, v9, s[20:23], null offen
	buffer_atomic_pk_add_f16 v8, v9, s[20:23], s24 offen
	s_wait_dscnt 0x0
	s_barrier_signal -1
	s_barrier_wait -1
	s_clause 0x1
	scratch_load_b128 v[7:10], off, off offset:3200
	scratch_load_b128 v[11:14], off, off offset:3216
	s_and_b32 s5, s7, s5
	s_and_b32 s3, s7, s3
	s_wait_alu 0xfffe
	v_cndmask_b32_e64 v2, 0x80000000, 0, s5
	s_and_b32 s5, s7, s6
	s_and_b32 s1, s7, s1
	;; [unrolled: 1-line block ×3, first 2 shown]
	s_delay_alu instid0(VALU_DEP_1)
	v_add_nc_u32_e32 v2, v15, v2
	s_wait_loadcnt 0x1
	v_cvt_f16_f32_e32 v7, v7
	v_cvt_f16_f32_e32 v8, v8
	;; [unrolled: 1-line block ×4, first 2 shown]
	s_wait_loadcnt 0x0
	v_cvt_f16_f32_e32 v11, v11
	v_cvt_f16_f32_e32 v12, v12
	;; [unrolled: 1-line block ×4, first 2 shown]
	ds_store_b16 v1, v7
	ds_store_b16 v1, v8 offset:128
	ds_store_b16 v1, v9 offset:256
	;; [unrolled: 1-line block ×7, first 2 shown]
	s_wait_dscnt 0x0
	s_barrier_signal -1
	s_barrier_wait -1
	ds_load_b64 v[7:8], v0
	s_wait_dscnt 0x0
	s_clause 0x1
	buffer_atomic_pk_add_f16 v7, v2, s[20:23], null offen
	buffer_atomic_pk_add_f16 v8, v2, s[20:23], s24 offen
	ds_load_b64 v[7:8], v0 offset:8
	v_cndmask_b32_e64 v2, 0x80000008, 8, s5
	s_delay_alu instid0(VALU_DEP_1)
	v_add_nc_u32_e32 v2, v15, v2
	s_wait_dscnt 0x0
	s_clause 0x1
	buffer_atomic_pk_add_f16 v7, v2, s[20:23], null offen
	buffer_atomic_pk_add_f16 v8, v2, s[20:23], s24 offen
	s_wait_dscnt 0x0
	s_barrier_signal -1
	s_barrier_wait -1
	s_clause 0x1
	scratch_load_b128 v[7:10], off, off offset:3168
	scratch_load_b128 v[11:14], off, off offset:3184
	s_wait_loadcnt 0x1
	v_cvt_f16_f32_e32 v2, v7
	v_cvt_f16_f32_e32 v7, v8
	;; [unrolled: 1-line block ×4, first 2 shown]
	s_wait_loadcnt 0x0
	v_cvt_f16_f32_e32 v10, v11
	v_cvt_f16_f32_e32 v11, v12
	;; [unrolled: 1-line block ×4, first 2 shown]
	ds_store_b16 v1, v2
	ds_store_b16 v1, v7 offset:128
	ds_store_b16 v1, v8 offset:256
	;; [unrolled: 1-line block ×7, first 2 shown]
	s_wait_dscnt 0x0
	s_barrier_signal -1
	s_barrier_wait -1
	ds_load_b64 v[7:8], v0
	v_cndmask_b32_e64 v2, 0x7fffff80, v3, s3
	s_and_b32 s3, s7, s4
	s_wait_alu 0xfffe
	v_cndmask_b32_e64 v4, 0x7fffff88, v4, s3
	s_delay_alu instid0(VALU_DEP_2)
	v_add_nc_u32_e32 v2, v15, v2
	s_wait_dscnt 0x0
	s_clause 0x1
	buffer_atomic_pk_add_f16 v7, v2, s[20:23], null offen
	buffer_atomic_pk_add_f16 v8, v2, s[20:23], s24 offen
	ds_load_b64 v[2:3], v0 offset:8
	v_add_nc_u32_e32 v4, v15, v4
	s_wait_dscnt 0x0
	s_clause 0x1
	buffer_atomic_pk_add_f16 v2, v4, s[20:23], null offen
	buffer_atomic_pk_add_f16 v3, v4, s[20:23], s24 offen
	s_wait_dscnt 0x0
	s_barrier_signal -1
	s_barrier_wait -1
	s_clause 0x1
	scratch_load_b128 v[7:10], off, off offset:3136
	scratch_load_b128 v[11:14], off, off offset:3152
	s_wait_loadcnt 0x1
	v_cvt_f16_f32_e32 v2, v7
	v_cvt_f16_f32_e32 v3, v8
	;; [unrolled: 1-line block ×4, first 2 shown]
	s_wait_loadcnt 0x0
	v_cvt_f16_f32_e32 v8, v11
	v_cvt_f16_f32_e32 v9, v12
	;; [unrolled: 1-line block ×4, first 2 shown]
	ds_store_b16 v1, v2
	ds_store_b16 v1, v3 offset:128
	ds_store_b16 v1, v4 offset:256
	;; [unrolled: 1-line block ×7, first 2 shown]
	s_wait_dscnt 0x0
	s_barrier_signal -1
	s_barrier_wait -1
	ds_load_b64 v[2:3], v0
	v_cndmask_b32_e64 v4, 0x7fffff00, v5, s1
	s_and_b32 s1, s7, s2
	s_delay_alu instid0(VALU_DEP_1)
	v_add_nc_u32_e32 v4, v15, v4
	s_wait_dscnt 0x0
	s_clause 0x1
	buffer_atomic_pk_add_f16 v2, v4, s[20:23], null offen
	buffer_atomic_pk_add_f16 v3, v4, s[20:23], s24 offen
	ds_load_b64 v[2:3], v0 offset:8
	v_cndmask_b32_e64 v4, 0x7fffff08, v6, s1
	s_and_b32 s1, vcc_lo, s7
	s_delay_alu instid0(VALU_DEP_1)
	v_add_nc_u32_e32 v4, v15, v4
	s_wait_dscnt 0x0
	s_clause 0x1
	buffer_atomic_pk_add_f16 v2, v4, s[20:23], null offen
	buffer_atomic_pk_add_f16 v3, v4, s[20:23], s24 offen
	s_wait_dscnt 0x0
	s_barrier_signal -1
	s_barrier_wait -1
	s_clause 0x1
	scratch_load_b128 v[2:5], off, off offset:3104
	scratch_load_b128 v[6:9], off, off offset:3120
	s_wait_loadcnt 0x1
	v_cvt_f16_f32_e32 v2, v2
	v_cvt_f16_f32_e32 v3, v3
	;; [unrolled: 1-line block ×4, first 2 shown]
	s_wait_loadcnt 0x0
	v_cvt_f16_f32_e32 v6, v6
	v_cvt_f16_f32_e32 v7, v7
	;; [unrolled: 1-line block ×4, first 2 shown]
	ds_store_b16 v1, v2
	ds_store_b16 v1, v3 offset:128
	ds_store_b16 v1, v4 offset:256
	;; [unrolled: 1-line block ×7, first 2 shown]
	s_wait_dscnt 0x0
	s_barrier_signal -1
	s_barrier_wait -1
	ds_load_b64 v[1:2], v0
	v_add_lshl_u32 v3, v20, s9, 1
	v_cndmask_b32_e64 v4, 0x80000000, 0, s1
	s_delay_alu instid0(VALU_DEP_1)
	v_add_nc_u32_e32 v4, v3, v4
	s_wait_dscnt 0x0
	s_clause 0x1
	buffer_atomic_pk_add_f16 v1, v4, s[20:23], null offen
	buffer_atomic_pk_add_f16 v2, v4, s[20:23], s24 offen
	ds_load_b64 v[0:1], v0 offset:8
	v_cndmask_b32_e64 v2, 0x80000008, 8, s0
	s_delay_alu instid0(VALU_DEP_1)
	v_add_nc_u32_e32 v2, v3, v2
	s_wait_dscnt 0x0
	s_clause 0x1
	buffer_atomic_pk_add_f16 v0, v2, s[20:23], null offen
	buffer_atomic_pk_add_f16 v1, v2, s[20:23], s24 offen
	s_endpgm
	.section	.rodata,"a",@progbits
	.p2align	6, 0x0
	.amdhsa_kernel _ZN2ck45kernel_gemm_xdl_cshuffle_v3_b_preshuffle_2ldsINS_41GridwiseGemm_xdl_cshuffle_v3_b_preshuffleINS_13tensor_layout4gemm8RowMajorENS3_11ColumnMajorES4_NS_9f8_fnuz_tENS_7pk_i4_tEfDF16_DF16_NS_16tensor_operation12element_wise11PassThroughESA_SA_LNS8_6device18GemmSpecializationE0ELi256ELi256ELi256ELi128ELi16ELi32ELi16ELi16ELi8ELi4ENS_8SequenceIJLi8ELi32ELi1EEEENSD_IJLi1ELi0ELi2EEEESF_Li2ELi16ELi16ELb0ELi0ENSD_IJLi4ELi64ELi1EEEESF_SF_Li2ELi32ELi32ELb0ELi0ELi1ELi1ENSD_IJLi1ELi32ELi1ELi8EEEELi4ELNS_26BlockGemmPipelineSchedulerE0ELNS_24BlockGemmPipelineVersionE2ES6_S6_Lb0ELb0ELi0EEELb1ELNS_25InMemoryDataOperationEnumE1ELi1ELNS_10TailNumberE0EEEvNT_8ArgumentE
		.amdhsa_group_segment_fixed_size 65536
		.amdhsa_private_segment_fixed_size 4400
		.amdhsa_kernarg_size 112
		.amdhsa_user_sgpr_count 2
		.amdhsa_user_sgpr_dispatch_ptr 0
		.amdhsa_user_sgpr_queue_ptr 0
		.amdhsa_user_sgpr_kernarg_segment_ptr 1
		.amdhsa_user_sgpr_dispatch_id 0
		.amdhsa_user_sgpr_private_segment_size 0
		.amdhsa_wavefront_size32 1
		.amdhsa_uses_dynamic_stack 0
		.amdhsa_enable_private_segment 1
		.amdhsa_system_sgpr_workgroup_id_x 1
		.amdhsa_system_sgpr_workgroup_id_y 0
		.amdhsa_system_sgpr_workgroup_id_z 1
		.amdhsa_system_sgpr_workgroup_info 0
		.amdhsa_system_vgpr_workitem_id 0
		.amdhsa_next_free_vgpr 241
		.amdhsa_next_free_sgpr 34
		.amdhsa_reserve_vcc 1
		.amdhsa_float_round_mode_32 0
		.amdhsa_float_round_mode_16_64 0
		.amdhsa_float_denorm_mode_32 3
		.amdhsa_float_denorm_mode_16_64 3
		.amdhsa_fp16_overflow 0
		.amdhsa_workgroup_processor_mode 1
		.amdhsa_memory_ordered 1
		.amdhsa_forward_progress 1
		.amdhsa_inst_pref_size 107
		.amdhsa_round_robin_scheduling 0
		.amdhsa_exception_fp_ieee_invalid_op 0
		.amdhsa_exception_fp_denorm_src 0
		.amdhsa_exception_fp_ieee_div_zero 0
		.amdhsa_exception_fp_ieee_overflow 0
		.amdhsa_exception_fp_ieee_underflow 0
		.amdhsa_exception_fp_ieee_inexact 0
		.amdhsa_exception_int_div_zero 0
	.end_amdhsa_kernel
	.section	.text._ZN2ck45kernel_gemm_xdl_cshuffle_v3_b_preshuffle_2ldsINS_41GridwiseGemm_xdl_cshuffle_v3_b_preshuffleINS_13tensor_layout4gemm8RowMajorENS3_11ColumnMajorES4_NS_9f8_fnuz_tENS_7pk_i4_tEfDF16_DF16_NS_16tensor_operation12element_wise11PassThroughESA_SA_LNS8_6device18GemmSpecializationE0ELi256ELi256ELi256ELi128ELi16ELi32ELi16ELi16ELi8ELi4ENS_8SequenceIJLi8ELi32ELi1EEEENSD_IJLi1ELi0ELi2EEEESF_Li2ELi16ELi16ELb0ELi0ENSD_IJLi4ELi64ELi1EEEESF_SF_Li2ELi32ELi32ELb0ELi0ELi1ELi1ENSD_IJLi1ELi32ELi1ELi8EEEELi4ELNS_26BlockGemmPipelineSchedulerE0ELNS_24BlockGemmPipelineVersionE2ES6_S6_Lb0ELb0ELi0EEELb1ELNS_25InMemoryDataOperationEnumE1ELi1ELNS_10TailNumberE0EEEvNT_8ArgumentE,"axG",@progbits,_ZN2ck45kernel_gemm_xdl_cshuffle_v3_b_preshuffle_2ldsINS_41GridwiseGemm_xdl_cshuffle_v3_b_preshuffleINS_13tensor_layout4gemm8RowMajorENS3_11ColumnMajorES4_NS_9f8_fnuz_tENS_7pk_i4_tEfDF16_DF16_NS_16tensor_operation12element_wise11PassThroughESA_SA_LNS8_6device18GemmSpecializationE0ELi256ELi256ELi256ELi128ELi16ELi32ELi16ELi16ELi8ELi4ENS_8SequenceIJLi8ELi32ELi1EEEENSD_IJLi1ELi0ELi2EEEESF_Li2ELi16ELi16ELb0ELi0ENSD_IJLi4ELi64ELi1EEEESF_SF_Li2ELi32ELi32ELb0ELi0ELi1ELi1ENSD_IJLi1ELi32ELi1ELi8EEEELi4ELNS_26BlockGemmPipelineSchedulerE0ELNS_24BlockGemmPipelineVersionE2ES6_S6_Lb0ELb0ELi0EEELb1ELNS_25InMemoryDataOperationEnumE1ELi1ELNS_10TailNumberE0EEEvNT_8ArgumentE,comdat
.Lfunc_end7:
	.size	_ZN2ck45kernel_gemm_xdl_cshuffle_v3_b_preshuffle_2ldsINS_41GridwiseGemm_xdl_cshuffle_v3_b_preshuffleINS_13tensor_layout4gemm8RowMajorENS3_11ColumnMajorES4_NS_9f8_fnuz_tENS_7pk_i4_tEfDF16_DF16_NS_16tensor_operation12element_wise11PassThroughESA_SA_LNS8_6device18GemmSpecializationE0ELi256ELi256ELi256ELi128ELi16ELi32ELi16ELi16ELi8ELi4ENS_8SequenceIJLi8ELi32ELi1EEEENSD_IJLi1ELi0ELi2EEEESF_Li2ELi16ELi16ELb0ELi0ENSD_IJLi4ELi64ELi1EEEESF_SF_Li2ELi32ELi32ELb0ELi0ELi1ELi1ENSD_IJLi1ELi32ELi1ELi8EEEELi4ELNS_26BlockGemmPipelineSchedulerE0ELNS_24BlockGemmPipelineVersionE2ES6_S6_Lb0ELb0ELi0EEELb1ELNS_25InMemoryDataOperationEnumE1ELi1ELNS_10TailNumberE0EEEvNT_8ArgumentE, .Lfunc_end7-_ZN2ck45kernel_gemm_xdl_cshuffle_v3_b_preshuffle_2ldsINS_41GridwiseGemm_xdl_cshuffle_v3_b_preshuffleINS_13tensor_layout4gemm8RowMajorENS3_11ColumnMajorES4_NS_9f8_fnuz_tENS_7pk_i4_tEfDF16_DF16_NS_16tensor_operation12element_wise11PassThroughESA_SA_LNS8_6device18GemmSpecializationE0ELi256ELi256ELi256ELi128ELi16ELi32ELi16ELi16ELi8ELi4ENS_8SequenceIJLi8ELi32ELi1EEEENSD_IJLi1ELi0ELi2EEEESF_Li2ELi16ELi16ELb0ELi0ENSD_IJLi4ELi64ELi1EEEESF_SF_Li2ELi32ELi32ELb0ELi0ELi1ELi1ENSD_IJLi1ELi32ELi1ELi8EEEELi4ELNS_26BlockGemmPipelineSchedulerE0ELNS_24BlockGemmPipelineVersionE2ES6_S6_Lb0ELb0ELi0EEELb1ELNS_25InMemoryDataOperationEnumE1ELi1ELNS_10TailNumberE0EEEvNT_8ArgumentE
                                        ; -- End function
	.set _ZN2ck45kernel_gemm_xdl_cshuffle_v3_b_preshuffle_2ldsINS_41GridwiseGemm_xdl_cshuffle_v3_b_preshuffleINS_13tensor_layout4gemm8RowMajorENS3_11ColumnMajorES4_NS_9f8_fnuz_tENS_7pk_i4_tEfDF16_DF16_NS_16tensor_operation12element_wise11PassThroughESA_SA_LNS8_6device18GemmSpecializationE0ELi256ELi256ELi256ELi128ELi16ELi32ELi16ELi16ELi8ELi4ENS_8SequenceIJLi8ELi32ELi1EEEENSD_IJLi1ELi0ELi2EEEESF_Li2ELi16ELi16ELb0ELi0ENSD_IJLi4ELi64ELi1EEEESF_SF_Li2ELi32ELi32ELb0ELi0ELi1ELi1ENSD_IJLi1ELi32ELi1ELi8EEEELi4ELNS_26BlockGemmPipelineSchedulerE0ELNS_24BlockGemmPipelineVersionE2ES6_S6_Lb0ELb0ELi0EEELb1ELNS_25InMemoryDataOperationEnumE1ELi1ELNS_10TailNumberE0EEEvNT_8ArgumentE.num_vgpr, max(46, .L_ZNK2ck52BlockwiseGemmXdlops_pipeline_bpreshuffle_bdequant_v3ILNS_26BlockGemmPipelineSchedulerE0ELi256ENS_9f8_fnuz_tENS_7pk_i4_tES2_fNS_16TensorDescriptorINS_5TupleIJNS_5EmbedINS5_IJNS_17integral_constantIiLi8EEENS7_IiLi256EEENS7_IiLi16EEEEEENS5_IJSA_NS7_IiLi128EEENS7_IiLi1EEEEEELb0EEENS_3XorINS5_IJS9_S8_EEELb1EEENS_11PassThroughISA_EENS_7UnMergeINS5_IJS8_SD_EEELb0EEENSJ_IS9_EESK_NSJ_IS8_EENS_21Merge_v3_division_modINS5_IJS9_SD_EEEEESK_EEENS5_IJNS_8SequenceIJLi0EEEENSU_IJLi2ELi1EEEENSU_IJLi3EEEENSU_IJLi5EEEENSU_IJLi4EEEENSU_IJLi6EEEENSU_IJLi7EEEENSU_IJLi9ELi8EEEENSU_IJLi10EEEEEEENS5_IJNSU_IJLi1ELi2ELi3EEEENSU_IJLi4ELi5EEEES10_NSU_IJLi7ELi8EEEENSU_IJLi9EEEES13_NSU_IJLi11EEEENSU_IJLi12EEEENSU_IJLi13EEEEEEENSU_IJLi11ELi12ELi13EEEENS7_IlLl32768EEEEENS4_INS5_IJNSL_INS5_IJNS7_IiLi4EEESD_NS7_IiLi2EEENS7_IiLi32EEEEEELb0EEEEEENS5_IJSV_EEENS5_IJNSU_IJLi1ELi2ELi3ELi4EEEEEEES1N_NS7_IlLl256EEEEENS4_INS5_IJSF_SI_SK_SN_SO_SK_SP_SS_SK_NSQ_INS5_IJS8_SA_EEEEENSL_INS5_IJS8_S1H_SA_EEELb0EEEEEENS5_IJSV_SW_SX_SY_SZ_S10_S11_S12_S13_NSU_IJLi11ELi13EEEES1A_EEENS5_IJS15_S16_S10_S17_S18_S13_S19_S1A_S1B_NSU_IJLi14EEEENSU_IJLi15ELi16ELi17EEEEEEENSU_IJLi15ELi16ELi17ELi14EEEES1E_EENS4_INS5_IJS1K_NSQ_INS5_IJS1G_S1H_EEEEENSL_INS5_IJS1G_S1G_SA_EEELb0EEEEEENS5_IJSV_NSU_IJLi1ELi3EEEENSU_IJLi2EEEEEEENS5_IJS1N_SY_NSU_IJLi6ELi7ELi8EEEEEEENSU_IJLi6ELi7ELi8ELi5EEEES1P_EELi16ELi32ELi256ELi256ELi128ELi16ELi16ELi8ELi4ELi32ELb0EE3RunILb1ELNS_10TailNumberE0ENS4_INS5_IJNS6_INS5_IJiiEEENS5_IJiSD_EEELb0EEENSL_IS2I_Lb0EEENSJ_IiEEEEENS5_IJSV_S29_NSU_IJLi1EEEEEEENS5_IJNSU_IJLi1ELi2EEEENSU_IJLi3ELi4EEEESY_EEENSU_IJLi3ELi5ELi4EEEElEES1F_NS_35ThreadGroupTensorSliceTransfer_v4r1INS_15ThisThreadBlockILi256EEENS_16tensor_operation12element_wise11PassThroughES30_LNS_25InMemoryDataOperationEnumE0ENSU_IJLi8ELi256ELi16EEEENSU_IJLi8ELi32ELi1EEEENSU_IJLi1ELi0ELi2EEEES2_S2_RKS2U_KS1F_S34_NSU_IJLi0ELi1ELi2EEEELi2ELi2ELi16ELi16ELi1ELi1ELb0ELb1ELi2EiEENS_13DynamicBufferILNS_16AddressSpaceEnumE1EKS2_lLb1ELNS_22AmdBufferCoherenceEnumE0EiEENS5_IJNS3A_ILS3B_2ES2_S1E_Lb1ELS3D_0EiEES3F_EEENS5_IJiiiEEENS4_INS5_IJNS6_INS5_IJiiiiEEENS5_IJiiiSD_EEELb0EEEEEES1M_S1O_S1N_lEENS_32ThreadwiseTensorSliceTransfer_v2IS3_S3_RKS3M_KS1Q_NSU_IJLi4ELi1ELi2ELi32EEEENSU_IJLi1ELi2ELi0ELi3EEEELi3ELi32ELi0ELb1ELb0ELb0EEENS3A_ILS3B_1EKS3_lLb1ELS3D_0EiEENS5_IJNS_12StaticBufferILS3B_4ES3_Li256ELb1EEES3X_EEES3I_NS_25StaticBufferTupleOfVectorILS3B_4EfLi32ELi8ELb1ELb0EEEEEvRKT1_RKT2_RT3_RKT4_RT5_RKT6_RKT7_RT8_RKT9_RT10_RKT11_RT12_i.num_vgpr)
	.set _ZN2ck45kernel_gemm_xdl_cshuffle_v3_b_preshuffle_2ldsINS_41GridwiseGemm_xdl_cshuffle_v3_b_preshuffleINS_13tensor_layout4gemm8RowMajorENS3_11ColumnMajorES4_NS_9f8_fnuz_tENS_7pk_i4_tEfDF16_DF16_NS_16tensor_operation12element_wise11PassThroughESA_SA_LNS8_6device18GemmSpecializationE0ELi256ELi256ELi256ELi128ELi16ELi32ELi16ELi16ELi8ELi4ENS_8SequenceIJLi8ELi32ELi1EEEENSD_IJLi1ELi0ELi2EEEESF_Li2ELi16ELi16ELb0ELi0ENSD_IJLi4ELi64ELi1EEEESF_SF_Li2ELi32ELi32ELb0ELi0ELi1ELi1ENSD_IJLi1ELi32ELi1ELi8EEEELi4ELNS_26BlockGemmPipelineSchedulerE0ELNS_24BlockGemmPipelineVersionE2ES6_S6_Lb0ELb0ELi0EEELb1ELNS_25InMemoryDataOperationEnumE1ELi1ELNS_10TailNumberE0EEEvNT_8ArgumentE.num_agpr, max(0, .L_ZNK2ck52BlockwiseGemmXdlops_pipeline_bpreshuffle_bdequant_v3ILNS_26BlockGemmPipelineSchedulerE0ELi256ENS_9f8_fnuz_tENS_7pk_i4_tES2_fNS_16TensorDescriptorINS_5TupleIJNS_5EmbedINS5_IJNS_17integral_constantIiLi8EEENS7_IiLi256EEENS7_IiLi16EEEEEENS5_IJSA_NS7_IiLi128EEENS7_IiLi1EEEEEELb0EEENS_3XorINS5_IJS9_S8_EEELb1EEENS_11PassThroughISA_EENS_7UnMergeINS5_IJS8_SD_EEELb0EEENSJ_IS9_EESK_NSJ_IS8_EENS_21Merge_v3_division_modINS5_IJS9_SD_EEEEESK_EEENS5_IJNS_8SequenceIJLi0EEEENSU_IJLi2ELi1EEEENSU_IJLi3EEEENSU_IJLi5EEEENSU_IJLi4EEEENSU_IJLi6EEEENSU_IJLi7EEEENSU_IJLi9ELi8EEEENSU_IJLi10EEEEEEENS5_IJNSU_IJLi1ELi2ELi3EEEENSU_IJLi4ELi5EEEES10_NSU_IJLi7ELi8EEEENSU_IJLi9EEEES13_NSU_IJLi11EEEENSU_IJLi12EEEENSU_IJLi13EEEEEEENSU_IJLi11ELi12ELi13EEEENS7_IlLl32768EEEEENS4_INS5_IJNSL_INS5_IJNS7_IiLi4EEESD_NS7_IiLi2EEENS7_IiLi32EEEEEELb0EEEEEENS5_IJSV_EEENS5_IJNSU_IJLi1ELi2ELi3ELi4EEEEEEES1N_NS7_IlLl256EEEEENS4_INS5_IJSF_SI_SK_SN_SO_SK_SP_SS_SK_NSQ_INS5_IJS8_SA_EEEEENSL_INS5_IJS8_S1H_SA_EEELb0EEEEEENS5_IJSV_SW_SX_SY_SZ_S10_S11_S12_S13_NSU_IJLi11ELi13EEEES1A_EEENS5_IJS15_S16_S10_S17_S18_S13_S19_S1A_S1B_NSU_IJLi14EEEENSU_IJLi15ELi16ELi17EEEEEEENSU_IJLi15ELi16ELi17ELi14EEEES1E_EENS4_INS5_IJS1K_NSQ_INS5_IJS1G_S1H_EEEEENSL_INS5_IJS1G_S1G_SA_EEELb0EEEEEENS5_IJSV_NSU_IJLi1ELi3EEEENSU_IJLi2EEEEEEENS5_IJS1N_SY_NSU_IJLi6ELi7ELi8EEEEEEENSU_IJLi6ELi7ELi8ELi5EEEES1P_EELi16ELi32ELi256ELi256ELi128ELi16ELi16ELi8ELi4ELi32ELb0EE3RunILb1ELNS_10TailNumberE0ENS4_INS5_IJNS6_INS5_IJiiEEENS5_IJiSD_EEELb0EEENSL_IS2I_Lb0EEENSJ_IiEEEEENS5_IJSV_S29_NSU_IJLi1EEEEEEENS5_IJNSU_IJLi1ELi2EEEENSU_IJLi3ELi4EEEESY_EEENSU_IJLi3ELi5ELi4EEEElEES1F_NS_35ThreadGroupTensorSliceTransfer_v4r1INS_15ThisThreadBlockILi256EEENS_16tensor_operation12element_wise11PassThroughES30_LNS_25InMemoryDataOperationEnumE0ENSU_IJLi8ELi256ELi16EEEENSU_IJLi8ELi32ELi1EEEENSU_IJLi1ELi0ELi2EEEES2_S2_RKS2U_KS1F_S34_NSU_IJLi0ELi1ELi2EEEELi2ELi2ELi16ELi16ELi1ELi1ELb0ELb1ELi2EiEENS_13DynamicBufferILNS_16AddressSpaceEnumE1EKS2_lLb1ELNS_22AmdBufferCoherenceEnumE0EiEENS5_IJNS3A_ILS3B_2ES2_S1E_Lb1ELS3D_0EiEES3F_EEENS5_IJiiiEEENS4_INS5_IJNS6_INS5_IJiiiiEEENS5_IJiiiSD_EEELb0EEEEEES1M_S1O_S1N_lEENS_32ThreadwiseTensorSliceTransfer_v2IS3_S3_RKS3M_KS1Q_NSU_IJLi4ELi1ELi2ELi32EEEENSU_IJLi1ELi2ELi0ELi3EEEELi3ELi32ELi0ELb1ELb0ELb0EEENS3A_ILS3B_1EKS3_lLb1ELS3D_0EiEENS5_IJNS_12StaticBufferILS3B_4ES3_Li256ELb1EEES3X_EEES3I_NS_25StaticBufferTupleOfVectorILS3B_4EfLi32ELi8ELb1ELb0EEEEEvRKT1_RKT2_RT3_RKT4_RT5_RKT6_RKT7_RT8_RKT9_RT10_RKT11_RT12_i.num_agpr)
	.set _ZN2ck45kernel_gemm_xdl_cshuffle_v3_b_preshuffle_2ldsINS_41GridwiseGemm_xdl_cshuffle_v3_b_preshuffleINS_13tensor_layout4gemm8RowMajorENS3_11ColumnMajorES4_NS_9f8_fnuz_tENS_7pk_i4_tEfDF16_DF16_NS_16tensor_operation12element_wise11PassThroughESA_SA_LNS8_6device18GemmSpecializationE0ELi256ELi256ELi256ELi128ELi16ELi32ELi16ELi16ELi8ELi4ENS_8SequenceIJLi8ELi32ELi1EEEENSD_IJLi1ELi0ELi2EEEESF_Li2ELi16ELi16ELb0ELi0ENSD_IJLi4ELi64ELi1EEEESF_SF_Li2ELi32ELi32ELb0ELi0ELi1ELi1ENSD_IJLi1ELi32ELi1ELi8EEEELi4ELNS_26BlockGemmPipelineSchedulerE0ELNS_24BlockGemmPipelineVersionE2ES6_S6_Lb0ELb0ELi0EEELb1ELNS_25InMemoryDataOperationEnumE1ELi1ELNS_10TailNumberE0EEEvNT_8ArgumentE.numbered_sgpr, max(33, .L_ZNK2ck52BlockwiseGemmXdlops_pipeline_bpreshuffle_bdequant_v3ILNS_26BlockGemmPipelineSchedulerE0ELi256ENS_9f8_fnuz_tENS_7pk_i4_tES2_fNS_16TensorDescriptorINS_5TupleIJNS_5EmbedINS5_IJNS_17integral_constantIiLi8EEENS7_IiLi256EEENS7_IiLi16EEEEEENS5_IJSA_NS7_IiLi128EEENS7_IiLi1EEEEEELb0EEENS_3XorINS5_IJS9_S8_EEELb1EEENS_11PassThroughISA_EENS_7UnMergeINS5_IJS8_SD_EEELb0EEENSJ_IS9_EESK_NSJ_IS8_EENS_21Merge_v3_division_modINS5_IJS9_SD_EEEEESK_EEENS5_IJNS_8SequenceIJLi0EEEENSU_IJLi2ELi1EEEENSU_IJLi3EEEENSU_IJLi5EEEENSU_IJLi4EEEENSU_IJLi6EEEENSU_IJLi7EEEENSU_IJLi9ELi8EEEENSU_IJLi10EEEEEEENS5_IJNSU_IJLi1ELi2ELi3EEEENSU_IJLi4ELi5EEEES10_NSU_IJLi7ELi8EEEENSU_IJLi9EEEES13_NSU_IJLi11EEEENSU_IJLi12EEEENSU_IJLi13EEEEEEENSU_IJLi11ELi12ELi13EEEENS7_IlLl32768EEEEENS4_INS5_IJNSL_INS5_IJNS7_IiLi4EEESD_NS7_IiLi2EEENS7_IiLi32EEEEEELb0EEEEEENS5_IJSV_EEENS5_IJNSU_IJLi1ELi2ELi3ELi4EEEEEEES1N_NS7_IlLl256EEEEENS4_INS5_IJSF_SI_SK_SN_SO_SK_SP_SS_SK_NSQ_INS5_IJS8_SA_EEEEENSL_INS5_IJS8_S1H_SA_EEELb0EEEEEENS5_IJSV_SW_SX_SY_SZ_S10_S11_S12_S13_NSU_IJLi11ELi13EEEES1A_EEENS5_IJS15_S16_S10_S17_S18_S13_S19_S1A_S1B_NSU_IJLi14EEEENSU_IJLi15ELi16ELi17EEEEEEENSU_IJLi15ELi16ELi17ELi14EEEES1E_EENS4_INS5_IJS1K_NSQ_INS5_IJS1G_S1H_EEEEENSL_INS5_IJS1G_S1G_SA_EEELb0EEEEEENS5_IJSV_NSU_IJLi1ELi3EEEENSU_IJLi2EEEEEEENS5_IJS1N_SY_NSU_IJLi6ELi7ELi8EEEEEEENSU_IJLi6ELi7ELi8ELi5EEEES1P_EELi16ELi32ELi256ELi256ELi128ELi16ELi16ELi8ELi4ELi32ELb0EE3RunILb1ELNS_10TailNumberE0ENS4_INS5_IJNS6_INS5_IJiiEEENS5_IJiSD_EEELb0EEENSL_IS2I_Lb0EEENSJ_IiEEEEENS5_IJSV_S29_NSU_IJLi1EEEEEEENS5_IJNSU_IJLi1ELi2EEEENSU_IJLi3ELi4EEEESY_EEENSU_IJLi3ELi5ELi4EEEElEES1F_NS_35ThreadGroupTensorSliceTransfer_v4r1INS_15ThisThreadBlockILi256EEENS_16tensor_operation12element_wise11PassThroughES30_LNS_25InMemoryDataOperationEnumE0ENSU_IJLi8ELi256ELi16EEEENSU_IJLi8ELi32ELi1EEEENSU_IJLi1ELi0ELi2EEEES2_S2_RKS2U_KS1F_S34_NSU_IJLi0ELi1ELi2EEEELi2ELi2ELi16ELi16ELi1ELi1ELb0ELb1ELi2EiEENS_13DynamicBufferILNS_16AddressSpaceEnumE1EKS2_lLb1ELNS_22AmdBufferCoherenceEnumE0EiEENS5_IJNS3A_ILS3B_2ES2_S1E_Lb1ELS3D_0EiEES3F_EEENS5_IJiiiEEENS4_INS5_IJNS6_INS5_IJiiiiEEENS5_IJiiiSD_EEELb0EEEEEES1M_S1O_S1N_lEENS_32ThreadwiseTensorSliceTransfer_v2IS3_S3_RKS3M_KS1Q_NSU_IJLi4ELi1ELi2ELi32EEEENSU_IJLi1ELi2ELi0ELi3EEEELi3ELi32ELi0ELb1ELb0ELb0EEENS3A_ILS3B_1EKS3_lLb1ELS3D_0EiEENS5_IJNS_12StaticBufferILS3B_4ES3_Li256ELb1EEES3X_EEES3I_NS_25StaticBufferTupleOfVectorILS3B_4EfLi32ELi8ELb1ELb0EEEEEvRKT1_RKT2_RT3_RKT4_RT5_RKT6_RKT7_RT8_RKT9_RT10_RKT11_RT12_i.numbered_sgpr)
	.set _ZN2ck45kernel_gemm_xdl_cshuffle_v3_b_preshuffle_2ldsINS_41GridwiseGemm_xdl_cshuffle_v3_b_preshuffleINS_13tensor_layout4gemm8RowMajorENS3_11ColumnMajorES4_NS_9f8_fnuz_tENS_7pk_i4_tEfDF16_DF16_NS_16tensor_operation12element_wise11PassThroughESA_SA_LNS8_6device18GemmSpecializationE0ELi256ELi256ELi256ELi128ELi16ELi32ELi16ELi16ELi8ELi4ENS_8SequenceIJLi8ELi32ELi1EEEENSD_IJLi1ELi0ELi2EEEESF_Li2ELi16ELi16ELb0ELi0ENSD_IJLi4ELi64ELi1EEEESF_SF_Li2ELi32ELi32ELb0ELi0ELi1ELi1ENSD_IJLi1ELi32ELi1ELi8EEEELi4ELNS_26BlockGemmPipelineSchedulerE0ELNS_24BlockGemmPipelineVersionE2ES6_S6_Lb0ELb0ELi0EEELb1ELNS_25InMemoryDataOperationEnumE1ELi1ELNS_10TailNumberE0EEEvNT_8ArgumentE.num_named_barrier, max(0, .L_ZNK2ck52BlockwiseGemmXdlops_pipeline_bpreshuffle_bdequant_v3ILNS_26BlockGemmPipelineSchedulerE0ELi256ENS_9f8_fnuz_tENS_7pk_i4_tES2_fNS_16TensorDescriptorINS_5TupleIJNS_5EmbedINS5_IJNS_17integral_constantIiLi8EEENS7_IiLi256EEENS7_IiLi16EEEEEENS5_IJSA_NS7_IiLi128EEENS7_IiLi1EEEEEELb0EEENS_3XorINS5_IJS9_S8_EEELb1EEENS_11PassThroughISA_EENS_7UnMergeINS5_IJS8_SD_EEELb0EEENSJ_IS9_EESK_NSJ_IS8_EENS_21Merge_v3_division_modINS5_IJS9_SD_EEEEESK_EEENS5_IJNS_8SequenceIJLi0EEEENSU_IJLi2ELi1EEEENSU_IJLi3EEEENSU_IJLi5EEEENSU_IJLi4EEEENSU_IJLi6EEEENSU_IJLi7EEEENSU_IJLi9ELi8EEEENSU_IJLi10EEEEEEENS5_IJNSU_IJLi1ELi2ELi3EEEENSU_IJLi4ELi5EEEES10_NSU_IJLi7ELi8EEEENSU_IJLi9EEEES13_NSU_IJLi11EEEENSU_IJLi12EEEENSU_IJLi13EEEEEEENSU_IJLi11ELi12ELi13EEEENS7_IlLl32768EEEEENS4_INS5_IJNSL_INS5_IJNS7_IiLi4EEESD_NS7_IiLi2EEENS7_IiLi32EEEEEELb0EEEEEENS5_IJSV_EEENS5_IJNSU_IJLi1ELi2ELi3ELi4EEEEEEES1N_NS7_IlLl256EEEEENS4_INS5_IJSF_SI_SK_SN_SO_SK_SP_SS_SK_NSQ_INS5_IJS8_SA_EEEEENSL_INS5_IJS8_S1H_SA_EEELb0EEEEEENS5_IJSV_SW_SX_SY_SZ_S10_S11_S12_S13_NSU_IJLi11ELi13EEEES1A_EEENS5_IJS15_S16_S10_S17_S18_S13_S19_S1A_S1B_NSU_IJLi14EEEENSU_IJLi15ELi16ELi17EEEEEEENSU_IJLi15ELi16ELi17ELi14EEEES1E_EENS4_INS5_IJS1K_NSQ_INS5_IJS1G_S1H_EEEEENSL_INS5_IJS1G_S1G_SA_EEELb0EEEEEENS5_IJSV_NSU_IJLi1ELi3EEEENSU_IJLi2EEEEEEENS5_IJS1N_SY_NSU_IJLi6ELi7ELi8EEEEEEENSU_IJLi6ELi7ELi8ELi5EEEES1P_EELi16ELi32ELi256ELi256ELi128ELi16ELi16ELi8ELi4ELi32ELb0EE3RunILb1ELNS_10TailNumberE0ENS4_INS5_IJNS6_INS5_IJiiEEENS5_IJiSD_EEELb0EEENSL_IS2I_Lb0EEENSJ_IiEEEEENS5_IJSV_S29_NSU_IJLi1EEEEEEENS5_IJNSU_IJLi1ELi2EEEENSU_IJLi3ELi4EEEESY_EEENSU_IJLi3ELi5ELi4EEEElEES1F_NS_35ThreadGroupTensorSliceTransfer_v4r1INS_15ThisThreadBlockILi256EEENS_16tensor_operation12element_wise11PassThroughES30_LNS_25InMemoryDataOperationEnumE0ENSU_IJLi8ELi256ELi16EEEENSU_IJLi8ELi32ELi1EEEENSU_IJLi1ELi0ELi2EEEES2_S2_RKS2U_KS1F_S34_NSU_IJLi0ELi1ELi2EEEELi2ELi2ELi16ELi16ELi1ELi1ELb0ELb1ELi2EiEENS_13DynamicBufferILNS_16AddressSpaceEnumE1EKS2_lLb1ELNS_22AmdBufferCoherenceEnumE0EiEENS5_IJNS3A_ILS3B_2ES2_S1E_Lb1ELS3D_0EiEES3F_EEENS5_IJiiiEEENS4_INS5_IJNS6_INS5_IJiiiiEEENS5_IJiiiSD_EEELb0EEEEEES1M_S1O_S1N_lEENS_32ThreadwiseTensorSliceTransfer_v2IS3_S3_RKS3M_KS1Q_NSU_IJLi4ELi1ELi2ELi32EEEENSU_IJLi1ELi2ELi0ELi3EEEELi3ELi32ELi0ELb1ELb0ELb0EEENS3A_ILS3B_1EKS3_lLb1ELS3D_0EiEENS5_IJNS_12StaticBufferILS3B_4ES3_Li256ELb1EEES3X_EEES3I_NS_25StaticBufferTupleOfVectorILS3B_4EfLi32ELi8ELb1ELb0EEEEEvRKT1_RKT2_RT3_RKT4_RT5_RKT6_RKT7_RT8_RKT9_RT10_RKT11_RT12_i.num_named_barrier)
	.set _ZN2ck45kernel_gemm_xdl_cshuffle_v3_b_preshuffle_2ldsINS_41GridwiseGemm_xdl_cshuffle_v3_b_preshuffleINS_13tensor_layout4gemm8RowMajorENS3_11ColumnMajorES4_NS_9f8_fnuz_tENS_7pk_i4_tEfDF16_DF16_NS_16tensor_operation12element_wise11PassThroughESA_SA_LNS8_6device18GemmSpecializationE0ELi256ELi256ELi256ELi128ELi16ELi32ELi16ELi16ELi8ELi4ENS_8SequenceIJLi8ELi32ELi1EEEENSD_IJLi1ELi0ELi2EEEESF_Li2ELi16ELi16ELb0ELi0ENSD_IJLi4ELi64ELi1EEEESF_SF_Li2ELi32ELi32ELb0ELi0ELi1ELi1ENSD_IJLi1ELi32ELi1ELi8EEEELi4ELNS_26BlockGemmPipelineSchedulerE0ELNS_24BlockGemmPipelineVersionE2ES6_S6_Lb0ELb0ELi0EEELb1ELNS_25InMemoryDataOperationEnumE1ELi1ELNS_10TailNumberE0EEEvNT_8ArgumentE.private_seg_size, 3360+max(.L_ZNK2ck52BlockwiseGemmXdlops_pipeline_bpreshuffle_bdequant_v3ILNS_26BlockGemmPipelineSchedulerE0ELi256ENS_9f8_fnuz_tENS_7pk_i4_tES2_fNS_16TensorDescriptorINS_5TupleIJNS_5EmbedINS5_IJNS_17integral_constantIiLi8EEENS7_IiLi256EEENS7_IiLi16EEEEEENS5_IJSA_NS7_IiLi128EEENS7_IiLi1EEEEEELb0EEENS_3XorINS5_IJS9_S8_EEELb1EEENS_11PassThroughISA_EENS_7UnMergeINS5_IJS8_SD_EEELb0EEENSJ_IS9_EESK_NSJ_IS8_EENS_21Merge_v3_division_modINS5_IJS9_SD_EEEEESK_EEENS5_IJNS_8SequenceIJLi0EEEENSU_IJLi2ELi1EEEENSU_IJLi3EEEENSU_IJLi5EEEENSU_IJLi4EEEENSU_IJLi6EEEENSU_IJLi7EEEENSU_IJLi9ELi8EEEENSU_IJLi10EEEEEEENS5_IJNSU_IJLi1ELi2ELi3EEEENSU_IJLi4ELi5EEEES10_NSU_IJLi7ELi8EEEENSU_IJLi9EEEES13_NSU_IJLi11EEEENSU_IJLi12EEEENSU_IJLi13EEEEEEENSU_IJLi11ELi12ELi13EEEENS7_IlLl32768EEEEENS4_INS5_IJNSL_INS5_IJNS7_IiLi4EEESD_NS7_IiLi2EEENS7_IiLi32EEEEEELb0EEEEEENS5_IJSV_EEENS5_IJNSU_IJLi1ELi2ELi3ELi4EEEEEEES1N_NS7_IlLl256EEEEENS4_INS5_IJSF_SI_SK_SN_SO_SK_SP_SS_SK_NSQ_INS5_IJS8_SA_EEEEENSL_INS5_IJS8_S1H_SA_EEELb0EEEEEENS5_IJSV_SW_SX_SY_SZ_S10_S11_S12_S13_NSU_IJLi11ELi13EEEES1A_EEENS5_IJS15_S16_S10_S17_S18_S13_S19_S1A_S1B_NSU_IJLi14EEEENSU_IJLi15ELi16ELi17EEEEEEENSU_IJLi15ELi16ELi17ELi14EEEES1E_EENS4_INS5_IJS1K_NSQ_INS5_IJS1G_S1H_EEEEENSL_INS5_IJS1G_S1G_SA_EEELb0EEEEEENS5_IJSV_NSU_IJLi1ELi3EEEENSU_IJLi2EEEEEEENS5_IJS1N_SY_NSU_IJLi6ELi7ELi8EEEEEEENSU_IJLi6ELi7ELi8ELi5EEEES1P_EELi16ELi32ELi256ELi256ELi128ELi16ELi16ELi8ELi4ELi32ELb0EE3RunILb1ELNS_10TailNumberE0ENS4_INS5_IJNS6_INS5_IJiiEEENS5_IJiSD_EEELb0EEENSL_IS2I_Lb0EEENSJ_IiEEEEENS5_IJSV_S29_NSU_IJLi1EEEEEEENS5_IJNSU_IJLi1ELi2EEEENSU_IJLi3ELi4EEEESY_EEENSU_IJLi3ELi5ELi4EEEElEES1F_NS_35ThreadGroupTensorSliceTransfer_v4r1INS_15ThisThreadBlockILi256EEENS_16tensor_operation12element_wise11PassThroughES30_LNS_25InMemoryDataOperationEnumE0ENSU_IJLi8ELi256ELi16EEEENSU_IJLi8ELi32ELi1EEEENSU_IJLi1ELi0ELi2EEEES2_S2_RKS2U_KS1F_S34_NSU_IJLi0ELi1ELi2EEEELi2ELi2ELi16ELi16ELi1ELi1ELb0ELb1ELi2EiEENS_13DynamicBufferILNS_16AddressSpaceEnumE1EKS2_lLb1ELNS_22AmdBufferCoherenceEnumE0EiEENS5_IJNS3A_ILS3B_2ES2_S1E_Lb1ELS3D_0EiEES3F_EEENS5_IJiiiEEENS4_INS5_IJNS6_INS5_IJiiiiEEENS5_IJiiiSD_EEELb0EEEEEES1M_S1O_S1N_lEENS_32ThreadwiseTensorSliceTransfer_v2IS3_S3_RKS3M_KS1Q_NSU_IJLi4ELi1ELi2ELi32EEEENSU_IJLi1ELi2ELi0ELi3EEEELi3ELi32ELi0ELb1ELb0ELb0EEENS3A_ILS3B_1EKS3_lLb1ELS3D_0EiEENS5_IJNS_12StaticBufferILS3B_4ES3_Li256ELb1EEES3X_EEES3I_NS_25StaticBufferTupleOfVectorILS3B_4EfLi32ELi8ELb1ELb0EEEEEvRKT1_RKT2_RT3_RKT4_RT5_RKT6_RKT7_RT8_RKT9_RT10_RKT11_RT12_i.private_seg_size)
	.set _ZN2ck45kernel_gemm_xdl_cshuffle_v3_b_preshuffle_2ldsINS_41GridwiseGemm_xdl_cshuffle_v3_b_preshuffleINS_13tensor_layout4gemm8RowMajorENS3_11ColumnMajorES4_NS_9f8_fnuz_tENS_7pk_i4_tEfDF16_DF16_NS_16tensor_operation12element_wise11PassThroughESA_SA_LNS8_6device18GemmSpecializationE0ELi256ELi256ELi256ELi128ELi16ELi32ELi16ELi16ELi8ELi4ENS_8SequenceIJLi8ELi32ELi1EEEENSD_IJLi1ELi0ELi2EEEESF_Li2ELi16ELi16ELb0ELi0ENSD_IJLi4ELi64ELi1EEEESF_SF_Li2ELi32ELi32ELb0ELi0ELi1ELi1ENSD_IJLi1ELi32ELi1ELi8EEEELi4ELNS_26BlockGemmPipelineSchedulerE0ELNS_24BlockGemmPipelineVersionE2ES6_S6_Lb0ELb0ELi0EEELb1ELNS_25InMemoryDataOperationEnumE1ELi1ELNS_10TailNumberE0EEEvNT_8ArgumentE.uses_vcc, or(1, .L_ZNK2ck52BlockwiseGemmXdlops_pipeline_bpreshuffle_bdequant_v3ILNS_26BlockGemmPipelineSchedulerE0ELi256ENS_9f8_fnuz_tENS_7pk_i4_tES2_fNS_16TensorDescriptorINS_5TupleIJNS_5EmbedINS5_IJNS_17integral_constantIiLi8EEENS7_IiLi256EEENS7_IiLi16EEEEEENS5_IJSA_NS7_IiLi128EEENS7_IiLi1EEEEEELb0EEENS_3XorINS5_IJS9_S8_EEELb1EEENS_11PassThroughISA_EENS_7UnMergeINS5_IJS8_SD_EEELb0EEENSJ_IS9_EESK_NSJ_IS8_EENS_21Merge_v3_division_modINS5_IJS9_SD_EEEEESK_EEENS5_IJNS_8SequenceIJLi0EEEENSU_IJLi2ELi1EEEENSU_IJLi3EEEENSU_IJLi5EEEENSU_IJLi4EEEENSU_IJLi6EEEENSU_IJLi7EEEENSU_IJLi9ELi8EEEENSU_IJLi10EEEEEEENS5_IJNSU_IJLi1ELi2ELi3EEEENSU_IJLi4ELi5EEEES10_NSU_IJLi7ELi8EEEENSU_IJLi9EEEES13_NSU_IJLi11EEEENSU_IJLi12EEEENSU_IJLi13EEEEEEENSU_IJLi11ELi12ELi13EEEENS7_IlLl32768EEEEENS4_INS5_IJNSL_INS5_IJNS7_IiLi4EEESD_NS7_IiLi2EEENS7_IiLi32EEEEEELb0EEEEEENS5_IJSV_EEENS5_IJNSU_IJLi1ELi2ELi3ELi4EEEEEEES1N_NS7_IlLl256EEEEENS4_INS5_IJSF_SI_SK_SN_SO_SK_SP_SS_SK_NSQ_INS5_IJS8_SA_EEEEENSL_INS5_IJS8_S1H_SA_EEELb0EEEEEENS5_IJSV_SW_SX_SY_SZ_S10_S11_S12_S13_NSU_IJLi11ELi13EEEES1A_EEENS5_IJS15_S16_S10_S17_S18_S13_S19_S1A_S1B_NSU_IJLi14EEEENSU_IJLi15ELi16ELi17EEEEEEENSU_IJLi15ELi16ELi17ELi14EEEES1E_EENS4_INS5_IJS1K_NSQ_INS5_IJS1G_S1H_EEEEENSL_INS5_IJS1G_S1G_SA_EEELb0EEEEEENS5_IJSV_NSU_IJLi1ELi3EEEENSU_IJLi2EEEEEEENS5_IJS1N_SY_NSU_IJLi6ELi7ELi8EEEEEEENSU_IJLi6ELi7ELi8ELi5EEEES1P_EELi16ELi32ELi256ELi256ELi128ELi16ELi16ELi8ELi4ELi32ELb0EE3RunILb1ELNS_10TailNumberE0ENS4_INS5_IJNS6_INS5_IJiiEEENS5_IJiSD_EEELb0EEENSL_IS2I_Lb0EEENSJ_IiEEEEENS5_IJSV_S29_NSU_IJLi1EEEEEEENS5_IJNSU_IJLi1ELi2EEEENSU_IJLi3ELi4EEEESY_EEENSU_IJLi3ELi5ELi4EEEElEES1F_NS_35ThreadGroupTensorSliceTransfer_v4r1INS_15ThisThreadBlockILi256EEENS_16tensor_operation12element_wise11PassThroughES30_LNS_25InMemoryDataOperationEnumE0ENSU_IJLi8ELi256ELi16EEEENSU_IJLi8ELi32ELi1EEEENSU_IJLi1ELi0ELi2EEEES2_S2_RKS2U_KS1F_S34_NSU_IJLi0ELi1ELi2EEEELi2ELi2ELi16ELi16ELi1ELi1ELb0ELb1ELi2EiEENS_13DynamicBufferILNS_16AddressSpaceEnumE1EKS2_lLb1ELNS_22AmdBufferCoherenceEnumE0EiEENS5_IJNS3A_ILS3B_2ES2_S1E_Lb1ELS3D_0EiEES3F_EEENS5_IJiiiEEENS4_INS5_IJNS6_INS5_IJiiiiEEENS5_IJiiiSD_EEELb0EEEEEES1M_S1O_S1N_lEENS_32ThreadwiseTensorSliceTransfer_v2IS3_S3_RKS3M_KS1Q_NSU_IJLi4ELi1ELi2ELi32EEEENSU_IJLi1ELi2ELi0ELi3EEEELi3ELi32ELi0ELb1ELb0ELb0EEENS3A_ILS3B_1EKS3_lLb1ELS3D_0EiEENS5_IJNS_12StaticBufferILS3B_4ES3_Li256ELb1EEES3X_EEES3I_NS_25StaticBufferTupleOfVectorILS3B_4EfLi32ELi8ELb1ELb0EEEEEvRKT1_RKT2_RT3_RKT4_RT5_RKT6_RKT7_RT8_RKT9_RT10_RKT11_RT12_i.uses_vcc)
	.set _ZN2ck45kernel_gemm_xdl_cshuffle_v3_b_preshuffle_2ldsINS_41GridwiseGemm_xdl_cshuffle_v3_b_preshuffleINS_13tensor_layout4gemm8RowMajorENS3_11ColumnMajorES4_NS_9f8_fnuz_tENS_7pk_i4_tEfDF16_DF16_NS_16tensor_operation12element_wise11PassThroughESA_SA_LNS8_6device18GemmSpecializationE0ELi256ELi256ELi256ELi128ELi16ELi32ELi16ELi16ELi8ELi4ENS_8SequenceIJLi8ELi32ELi1EEEENSD_IJLi1ELi0ELi2EEEESF_Li2ELi16ELi16ELb0ELi0ENSD_IJLi4ELi64ELi1EEEESF_SF_Li2ELi32ELi32ELb0ELi0ELi1ELi1ENSD_IJLi1ELi32ELi1ELi8EEEELi4ELNS_26BlockGemmPipelineSchedulerE0ELNS_24BlockGemmPipelineVersionE2ES6_S6_Lb0ELb0ELi0EEELb1ELNS_25InMemoryDataOperationEnumE1ELi1ELNS_10TailNumberE0EEEvNT_8ArgumentE.uses_flat_scratch, or(1, .L_ZNK2ck52BlockwiseGemmXdlops_pipeline_bpreshuffle_bdequant_v3ILNS_26BlockGemmPipelineSchedulerE0ELi256ENS_9f8_fnuz_tENS_7pk_i4_tES2_fNS_16TensorDescriptorINS_5TupleIJNS_5EmbedINS5_IJNS_17integral_constantIiLi8EEENS7_IiLi256EEENS7_IiLi16EEEEEENS5_IJSA_NS7_IiLi128EEENS7_IiLi1EEEEEELb0EEENS_3XorINS5_IJS9_S8_EEELb1EEENS_11PassThroughISA_EENS_7UnMergeINS5_IJS8_SD_EEELb0EEENSJ_IS9_EESK_NSJ_IS8_EENS_21Merge_v3_division_modINS5_IJS9_SD_EEEEESK_EEENS5_IJNS_8SequenceIJLi0EEEENSU_IJLi2ELi1EEEENSU_IJLi3EEEENSU_IJLi5EEEENSU_IJLi4EEEENSU_IJLi6EEEENSU_IJLi7EEEENSU_IJLi9ELi8EEEENSU_IJLi10EEEEEEENS5_IJNSU_IJLi1ELi2ELi3EEEENSU_IJLi4ELi5EEEES10_NSU_IJLi7ELi8EEEENSU_IJLi9EEEES13_NSU_IJLi11EEEENSU_IJLi12EEEENSU_IJLi13EEEEEEENSU_IJLi11ELi12ELi13EEEENS7_IlLl32768EEEEENS4_INS5_IJNSL_INS5_IJNS7_IiLi4EEESD_NS7_IiLi2EEENS7_IiLi32EEEEEELb0EEEEEENS5_IJSV_EEENS5_IJNSU_IJLi1ELi2ELi3ELi4EEEEEEES1N_NS7_IlLl256EEEEENS4_INS5_IJSF_SI_SK_SN_SO_SK_SP_SS_SK_NSQ_INS5_IJS8_SA_EEEEENSL_INS5_IJS8_S1H_SA_EEELb0EEEEEENS5_IJSV_SW_SX_SY_SZ_S10_S11_S12_S13_NSU_IJLi11ELi13EEEES1A_EEENS5_IJS15_S16_S10_S17_S18_S13_S19_S1A_S1B_NSU_IJLi14EEEENSU_IJLi15ELi16ELi17EEEEEEENSU_IJLi15ELi16ELi17ELi14EEEES1E_EENS4_INS5_IJS1K_NSQ_INS5_IJS1G_S1H_EEEEENSL_INS5_IJS1G_S1G_SA_EEELb0EEEEEENS5_IJSV_NSU_IJLi1ELi3EEEENSU_IJLi2EEEEEEENS5_IJS1N_SY_NSU_IJLi6ELi7ELi8EEEEEEENSU_IJLi6ELi7ELi8ELi5EEEES1P_EELi16ELi32ELi256ELi256ELi128ELi16ELi16ELi8ELi4ELi32ELb0EE3RunILb1ELNS_10TailNumberE0ENS4_INS5_IJNS6_INS5_IJiiEEENS5_IJiSD_EEELb0EEENSL_IS2I_Lb0EEENSJ_IiEEEEENS5_IJSV_S29_NSU_IJLi1EEEEEEENS5_IJNSU_IJLi1ELi2EEEENSU_IJLi3ELi4EEEESY_EEENSU_IJLi3ELi5ELi4EEEElEES1F_NS_35ThreadGroupTensorSliceTransfer_v4r1INS_15ThisThreadBlockILi256EEENS_16tensor_operation12element_wise11PassThroughES30_LNS_25InMemoryDataOperationEnumE0ENSU_IJLi8ELi256ELi16EEEENSU_IJLi8ELi32ELi1EEEENSU_IJLi1ELi0ELi2EEEES2_S2_RKS2U_KS1F_S34_NSU_IJLi0ELi1ELi2EEEELi2ELi2ELi16ELi16ELi1ELi1ELb0ELb1ELi2EiEENS_13DynamicBufferILNS_16AddressSpaceEnumE1EKS2_lLb1ELNS_22AmdBufferCoherenceEnumE0EiEENS5_IJNS3A_ILS3B_2ES2_S1E_Lb1ELS3D_0EiEES3F_EEENS5_IJiiiEEENS4_INS5_IJNS6_INS5_IJiiiiEEENS5_IJiiiSD_EEELb0EEEEEES1M_S1O_S1N_lEENS_32ThreadwiseTensorSliceTransfer_v2IS3_S3_RKS3M_KS1Q_NSU_IJLi4ELi1ELi2ELi32EEEENSU_IJLi1ELi2ELi0ELi3EEEELi3ELi32ELi0ELb1ELb0ELb0EEENS3A_ILS3B_1EKS3_lLb1ELS3D_0EiEENS5_IJNS_12StaticBufferILS3B_4ES3_Li256ELb1EEES3X_EEES3I_NS_25StaticBufferTupleOfVectorILS3B_4EfLi32ELi8ELb1ELb0EEEEEvRKT1_RKT2_RT3_RKT4_RT5_RKT6_RKT7_RT8_RKT9_RT10_RKT11_RT12_i.uses_flat_scratch)
	.set _ZN2ck45kernel_gemm_xdl_cshuffle_v3_b_preshuffle_2ldsINS_41GridwiseGemm_xdl_cshuffle_v3_b_preshuffleINS_13tensor_layout4gemm8RowMajorENS3_11ColumnMajorES4_NS_9f8_fnuz_tENS_7pk_i4_tEfDF16_DF16_NS_16tensor_operation12element_wise11PassThroughESA_SA_LNS8_6device18GemmSpecializationE0ELi256ELi256ELi256ELi128ELi16ELi32ELi16ELi16ELi8ELi4ENS_8SequenceIJLi8ELi32ELi1EEEENSD_IJLi1ELi0ELi2EEEESF_Li2ELi16ELi16ELb0ELi0ENSD_IJLi4ELi64ELi1EEEESF_SF_Li2ELi32ELi32ELb0ELi0ELi1ELi1ENSD_IJLi1ELi32ELi1ELi8EEEELi4ELNS_26BlockGemmPipelineSchedulerE0ELNS_24BlockGemmPipelineVersionE2ES6_S6_Lb0ELb0ELi0EEELb1ELNS_25InMemoryDataOperationEnumE1ELi1ELNS_10TailNumberE0EEEvNT_8ArgumentE.has_dyn_sized_stack, or(0, .L_ZNK2ck52BlockwiseGemmXdlops_pipeline_bpreshuffle_bdequant_v3ILNS_26BlockGemmPipelineSchedulerE0ELi256ENS_9f8_fnuz_tENS_7pk_i4_tES2_fNS_16TensorDescriptorINS_5TupleIJNS_5EmbedINS5_IJNS_17integral_constantIiLi8EEENS7_IiLi256EEENS7_IiLi16EEEEEENS5_IJSA_NS7_IiLi128EEENS7_IiLi1EEEEEELb0EEENS_3XorINS5_IJS9_S8_EEELb1EEENS_11PassThroughISA_EENS_7UnMergeINS5_IJS8_SD_EEELb0EEENSJ_IS9_EESK_NSJ_IS8_EENS_21Merge_v3_division_modINS5_IJS9_SD_EEEEESK_EEENS5_IJNS_8SequenceIJLi0EEEENSU_IJLi2ELi1EEEENSU_IJLi3EEEENSU_IJLi5EEEENSU_IJLi4EEEENSU_IJLi6EEEENSU_IJLi7EEEENSU_IJLi9ELi8EEEENSU_IJLi10EEEEEEENS5_IJNSU_IJLi1ELi2ELi3EEEENSU_IJLi4ELi5EEEES10_NSU_IJLi7ELi8EEEENSU_IJLi9EEEES13_NSU_IJLi11EEEENSU_IJLi12EEEENSU_IJLi13EEEEEEENSU_IJLi11ELi12ELi13EEEENS7_IlLl32768EEEEENS4_INS5_IJNSL_INS5_IJNS7_IiLi4EEESD_NS7_IiLi2EEENS7_IiLi32EEEEEELb0EEEEEENS5_IJSV_EEENS5_IJNSU_IJLi1ELi2ELi3ELi4EEEEEEES1N_NS7_IlLl256EEEEENS4_INS5_IJSF_SI_SK_SN_SO_SK_SP_SS_SK_NSQ_INS5_IJS8_SA_EEEEENSL_INS5_IJS8_S1H_SA_EEELb0EEEEEENS5_IJSV_SW_SX_SY_SZ_S10_S11_S12_S13_NSU_IJLi11ELi13EEEES1A_EEENS5_IJS15_S16_S10_S17_S18_S13_S19_S1A_S1B_NSU_IJLi14EEEENSU_IJLi15ELi16ELi17EEEEEEENSU_IJLi15ELi16ELi17ELi14EEEES1E_EENS4_INS5_IJS1K_NSQ_INS5_IJS1G_S1H_EEEEENSL_INS5_IJS1G_S1G_SA_EEELb0EEEEEENS5_IJSV_NSU_IJLi1ELi3EEEENSU_IJLi2EEEEEEENS5_IJS1N_SY_NSU_IJLi6ELi7ELi8EEEEEEENSU_IJLi6ELi7ELi8ELi5EEEES1P_EELi16ELi32ELi256ELi256ELi128ELi16ELi16ELi8ELi4ELi32ELb0EE3RunILb1ELNS_10TailNumberE0ENS4_INS5_IJNS6_INS5_IJiiEEENS5_IJiSD_EEELb0EEENSL_IS2I_Lb0EEENSJ_IiEEEEENS5_IJSV_S29_NSU_IJLi1EEEEEEENS5_IJNSU_IJLi1ELi2EEEENSU_IJLi3ELi4EEEESY_EEENSU_IJLi3ELi5ELi4EEEElEES1F_NS_35ThreadGroupTensorSliceTransfer_v4r1INS_15ThisThreadBlockILi256EEENS_16tensor_operation12element_wise11PassThroughES30_LNS_25InMemoryDataOperationEnumE0ENSU_IJLi8ELi256ELi16EEEENSU_IJLi8ELi32ELi1EEEENSU_IJLi1ELi0ELi2EEEES2_S2_RKS2U_KS1F_S34_NSU_IJLi0ELi1ELi2EEEELi2ELi2ELi16ELi16ELi1ELi1ELb0ELb1ELi2EiEENS_13DynamicBufferILNS_16AddressSpaceEnumE1EKS2_lLb1ELNS_22AmdBufferCoherenceEnumE0EiEENS5_IJNS3A_ILS3B_2ES2_S1E_Lb1ELS3D_0EiEES3F_EEENS5_IJiiiEEENS4_INS5_IJNS6_INS5_IJiiiiEEENS5_IJiiiSD_EEELb0EEEEEES1M_S1O_S1N_lEENS_32ThreadwiseTensorSliceTransfer_v2IS3_S3_RKS3M_KS1Q_NSU_IJLi4ELi1ELi2ELi32EEEENSU_IJLi1ELi2ELi0ELi3EEEELi3ELi32ELi0ELb1ELb0ELb0EEENS3A_ILS3B_1EKS3_lLb1ELS3D_0EiEENS5_IJNS_12StaticBufferILS3B_4ES3_Li256ELb1EEES3X_EEES3I_NS_25StaticBufferTupleOfVectorILS3B_4EfLi32ELi8ELb1ELb0EEEEEvRKT1_RKT2_RT3_RKT4_RT5_RKT6_RKT7_RT8_RKT9_RT10_RKT11_RT12_i.has_dyn_sized_stack)
	.set _ZN2ck45kernel_gemm_xdl_cshuffle_v3_b_preshuffle_2ldsINS_41GridwiseGemm_xdl_cshuffle_v3_b_preshuffleINS_13tensor_layout4gemm8RowMajorENS3_11ColumnMajorES4_NS_9f8_fnuz_tENS_7pk_i4_tEfDF16_DF16_NS_16tensor_operation12element_wise11PassThroughESA_SA_LNS8_6device18GemmSpecializationE0ELi256ELi256ELi256ELi128ELi16ELi32ELi16ELi16ELi8ELi4ENS_8SequenceIJLi8ELi32ELi1EEEENSD_IJLi1ELi0ELi2EEEESF_Li2ELi16ELi16ELb0ELi0ENSD_IJLi4ELi64ELi1EEEESF_SF_Li2ELi32ELi32ELb0ELi0ELi1ELi1ENSD_IJLi1ELi32ELi1ELi8EEEELi4ELNS_26BlockGemmPipelineSchedulerE0ELNS_24BlockGemmPipelineVersionE2ES6_S6_Lb0ELb0ELi0EEELb1ELNS_25InMemoryDataOperationEnumE1ELi1ELNS_10TailNumberE0EEEvNT_8ArgumentE.has_recursion, or(0, .L_ZNK2ck52BlockwiseGemmXdlops_pipeline_bpreshuffle_bdequant_v3ILNS_26BlockGemmPipelineSchedulerE0ELi256ENS_9f8_fnuz_tENS_7pk_i4_tES2_fNS_16TensorDescriptorINS_5TupleIJNS_5EmbedINS5_IJNS_17integral_constantIiLi8EEENS7_IiLi256EEENS7_IiLi16EEEEEENS5_IJSA_NS7_IiLi128EEENS7_IiLi1EEEEEELb0EEENS_3XorINS5_IJS9_S8_EEELb1EEENS_11PassThroughISA_EENS_7UnMergeINS5_IJS8_SD_EEELb0EEENSJ_IS9_EESK_NSJ_IS8_EENS_21Merge_v3_division_modINS5_IJS9_SD_EEEEESK_EEENS5_IJNS_8SequenceIJLi0EEEENSU_IJLi2ELi1EEEENSU_IJLi3EEEENSU_IJLi5EEEENSU_IJLi4EEEENSU_IJLi6EEEENSU_IJLi7EEEENSU_IJLi9ELi8EEEENSU_IJLi10EEEEEEENS5_IJNSU_IJLi1ELi2ELi3EEEENSU_IJLi4ELi5EEEES10_NSU_IJLi7ELi8EEEENSU_IJLi9EEEES13_NSU_IJLi11EEEENSU_IJLi12EEEENSU_IJLi13EEEEEEENSU_IJLi11ELi12ELi13EEEENS7_IlLl32768EEEEENS4_INS5_IJNSL_INS5_IJNS7_IiLi4EEESD_NS7_IiLi2EEENS7_IiLi32EEEEEELb0EEEEEENS5_IJSV_EEENS5_IJNSU_IJLi1ELi2ELi3ELi4EEEEEEES1N_NS7_IlLl256EEEEENS4_INS5_IJSF_SI_SK_SN_SO_SK_SP_SS_SK_NSQ_INS5_IJS8_SA_EEEEENSL_INS5_IJS8_S1H_SA_EEELb0EEEEEENS5_IJSV_SW_SX_SY_SZ_S10_S11_S12_S13_NSU_IJLi11ELi13EEEES1A_EEENS5_IJS15_S16_S10_S17_S18_S13_S19_S1A_S1B_NSU_IJLi14EEEENSU_IJLi15ELi16ELi17EEEEEEENSU_IJLi15ELi16ELi17ELi14EEEES1E_EENS4_INS5_IJS1K_NSQ_INS5_IJS1G_S1H_EEEEENSL_INS5_IJS1G_S1G_SA_EEELb0EEEEEENS5_IJSV_NSU_IJLi1ELi3EEEENSU_IJLi2EEEEEEENS5_IJS1N_SY_NSU_IJLi6ELi7ELi8EEEEEEENSU_IJLi6ELi7ELi8ELi5EEEES1P_EELi16ELi32ELi256ELi256ELi128ELi16ELi16ELi8ELi4ELi32ELb0EE3RunILb1ELNS_10TailNumberE0ENS4_INS5_IJNS6_INS5_IJiiEEENS5_IJiSD_EEELb0EEENSL_IS2I_Lb0EEENSJ_IiEEEEENS5_IJSV_S29_NSU_IJLi1EEEEEEENS5_IJNSU_IJLi1ELi2EEEENSU_IJLi3ELi4EEEESY_EEENSU_IJLi3ELi5ELi4EEEElEES1F_NS_35ThreadGroupTensorSliceTransfer_v4r1INS_15ThisThreadBlockILi256EEENS_16tensor_operation12element_wise11PassThroughES30_LNS_25InMemoryDataOperationEnumE0ENSU_IJLi8ELi256ELi16EEEENSU_IJLi8ELi32ELi1EEEENSU_IJLi1ELi0ELi2EEEES2_S2_RKS2U_KS1F_S34_NSU_IJLi0ELi1ELi2EEEELi2ELi2ELi16ELi16ELi1ELi1ELb0ELb1ELi2EiEENS_13DynamicBufferILNS_16AddressSpaceEnumE1EKS2_lLb1ELNS_22AmdBufferCoherenceEnumE0EiEENS5_IJNS3A_ILS3B_2ES2_S1E_Lb1ELS3D_0EiEES3F_EEENS5_IJiiiEEENS4_INS5_IJNS6_INS5_IJiiiiEEENS5_IJiiiSD_EEELb0EEEEEES1M_S1O_S1N_lEENS_32ThreadwiseTensorSliceTransfer_v2IS3_S3_RKS3M_KS1Q_NSU_IJLi4ELi1ELi2ELi32EEEENSU_IJLi1ELi2ELi0ELi3EEEELi3ELi32ELi0ELb1ELb0ELb0EEENS3A_ILS3B_1EKS3_lLb1ELS3D_0EiEENS5_IJNS_12StaticBufferILS3B_4ES3_Li256ELb1EEES3X_EEES3I_NS_25StaticBufferTupleOfVectorILS3B_4EfLi32ELi8ELb1ELb0EEEEEvRKT1_RKT2_RT3_RKT4_RT5_RKT6_RKT7_RT8_RKT9_RT10_RKT11_RT12_i.has_recursion)
	.set _ZN2ck45kernel_gemm_xdl_cshuffle_v3_b_preshuffle_2ldsINS_41GridwiseGemm_xdl_cshuffle_v3_b_preshuffleINS_13tensor_layout4gemm8RowMajorENS3_11ColumnMajorES4_NS_9f8_fnuz_tENS_7pk_i4_tEfDF16_DF16_NS_16tensor_operation12element_wise11PassThroughESA_SA_LNS8_6device18GemmSpecializationE0ELi256ELi256ELi256ELi128ELi16ELi32ELi16ELi16ELi8ELi4ENS_8SequenceIJLi8ELi32ELi1EEEENSD_IJLi1ELi0ELi2EEEESF_Li2ELi16ELi16ELb0ELi0ENSD_IJLi4ELi64ELi1EEEESF_SF_Li2ELi32ELi32ELb0ELi0ELi1ELi1ENSD_IJLi1ELi32ELi1ELi8EEEELi4ELNS_26BlockGemmPipelineSchedulerE0ELNS_24BlockGemmPipelineVersionE2ES6_S6_Lb0ELb0ELi0EEELb1ELNS_25InMemoryDataOperationEnumE1ELi1ELNS_10TailNumberE0EEEvNT_8ArgumentE.has_indirect_call, or(0, .L_ZNK2ck52BlockwiseGemmXdlops_pipeline_bpreshuffle_bdequant_v3ILNS_26BlockGemmPipelineSchedulerE0ELi256ENS_9f8_fnuz_tENS_7pk_i4_tES2_fNS_16TensorDescriptorINS_5TupleIJNS_5EmbedINS5_IJNS_17integral_constantIiLi8EEENS7_IiLi256EEENS7_IiLi16EEEEEENS5_IJSA_NS7_IiLi128EEENS7_IiLi1EEEEEELb0EEENS_3XorINS5_IJS9_S8_EEELb1EEENS_11PassThroughISA_EENS_7UnMergeINS5_IJS8_SD_EEELb0EEENSJ_IS9_EESK_NSJ_IS8_EENS_21Merge_v3_division_modINS5_IJS9_SD_EEEEESK_EEENS5_IJNS_8SequenceIJLi0EEEENSU_IJLi2ELi1EEEENSU_IJLi3EEEENSU_IJLi5EEEENSU_IJLi4EEEENSU_IJLi6EEEENSU_IJLi7EEEENSU_IJLi9ELi8EEEENSU_IJLi10EEEEEEENS5_IJNSU_IJLi1ELi2ELi3EEEENSU_IJLi4ELi5EEEES10_NSU_IJLi7ELi8EEEENSU_IJLi9EEEES13_NSU_IJLi11EEEENSU_IJLi12EEEENSU_IJLi13EEEEEEENSU_IJLi11ELi12ELi13EEEENS7_IlLl32768EEEEENS4_INS5_IJNSL_INS5_IJNS7_IiLi4EEESD_NS7_IiLi2EEENS7_IiLi32EEEEEELb0EEEEEENS5_IJSV_EEENS5_IJNSU_IJLi1ELi2ELi3ELi4EEEEEEES1N_NS7_IlLl256EEEEENS4_INS5_IJSF_SI_SK_SN_SO_SK_SP_SS_SK_NSQ_INS5_IJS8_SA_EEEEENSL_INS5_IJS8_S1H_SA_EEELb0EEEEEENS5_IJSV_SW_SX_SY_SZ_S10_S11_S12_S13_NSU_IJLi11ELi13EEEES1A_EEENS5_IJS15_S16_S10_S17_S18_S13_S19_S1A_S1B_NSU_IJLi14EEEENSU_IJLi15ELi16ELi17EEEEEEENSU_IJLi15ELi16ELi17ELi14EEEES1E_EENS4_INS5_IJS1K_NSQ_INS5_IJS1G_S1H_EEEEENSL_INS5_IJS1G_S1G_SA_EEELb0EEEEEENS5_IJSV_NSU_IJLi1ELi3EEEENSU_IJLi2EEEEEEENS5_IJS1N_SY_NSU_IJLi6ELi7ELi8EEEEEEENSU_IJLi6ELi7ELi8ELi5EEEES1P_EELi16ELi32ELi256ELi256ELi128ELi16ELi16ELi8ELi4ELi32ELb0EE3RunILb1ELNS_10TailNumberE0ENS4_INS5_IJNS6_INS5_IJiiEEENS5_IJiSD_EEELb0EEENSL_IS2I_Lb0EEENSJ_IiEEEEENS5_IJSV_S29_NSU_IJLi1EEEEEEENS5_IJNSU_IJLi1ELi2EEEENSU_IJLi3ELi4EEEESY_EEENSU_IJLi3ELi5ELi4EEEElEES1F_NS_35ThreadGroupTensorSliceTransfer_v4r1INS_15ThisThreadBlockILi256EEENS_16tensor_operation12element_wise11PassThroughES30_LNS_25InMemoryDataOperationEnumE0ENSU_IJLi8ELi256ELi16EEEENSU_IJLi8ELi32ELi1EEEENSU_IJLi1ELi0ELi2EEEES2_S2_RKS2U_KS1F_S34_NSU_IJLi0ELi1ELi2EEEELi2ELi2ELi16ELi16ELi1ELi1ELb0ELb1ELi2EiEENS_13DynamicBufferILNS_16AddressSpaceEnumE1EKS2_lLb1ELNS_22AmdBufferCoherenceEnumE0EiEENS5_IJNS3A_ILS3B_2ES2_S1E_Lb1ELS3D_0EiEES3F_EEENS5_IJiiiEEENS4_INS5_IJNS6_INS5_IJiiiiEEENS5_IJiiiSD_EEELb0EEEEEES1M_S1O_S1N_lEENS_32ThreadwiseTensorSliceTransfer_v2IS3_S3_RKS3M_KS1Q_NSU_IJLi4ELi1ELi2ELi32EEEENSU_IJLi1ELi2ELi0ELi3EEEELi3ELi32ELi0ELb1ELb0ELb0EEENS3A_ILS3B_1EKS3_lLb1ELS3D_0EiEENS5_IJNS_12StaticBufferILS3B_4ES3_Li256ELb1EEES3X_EEES3I_NS_25StaticBufferTupleOfVectorILS3B_4EfLi32ELi8ELb1ELb0EEEEEvRKT1_RKT2_RT3_RKT4_RT5_RKT6_RKT7_RT8_RKT9_RT10_RKT11_RT12_i.has_indirect_call)
	.section	.AMDGPU.csdata,"",@progbits
; Kernel info:
; codeLenInByte = 13612
; TotalNumSgprs: 36
; NumVgprs: 152
; ScratchSize: 4400
; MemoryBound: 0
; FloatMode: 240
; IeeeMode: 1
; LDSByteSize: 65536 bytes/workgroup (compile time only)
; SGPRBlocks: 0
; VGPRBlocks: 30
; NumSGPRsForWavesPerEU: 36
; NumVGPRsForWavesPerEU: 241
; Occupancy: 4
; WaveLimiterHint : 1
; COMPUTE_PGM_RSRC2:SCRATCH_EN: 1
; COMPUTE_PGM_RSRC2:USER_SGPR: 2
; COMPUTE_PGM_RSRC2:TRAP_HANDLER: 0
; COMPUTE_PGM_RSRC2:TGID_X_EN: 1
; COMPUTE_PGM_RSRC2:TGID_Y_EN: 0
; COMPUTE_PGM_RSRC2:TGID_Z_EN: 1
; COMPUTE_PGM_RSRC2:TIDIG_COMP_CNT: 0
	.text
	.p2align	2                               ; -- Begin function _ZNK2ck52BlockwiseGemmXdlops_pipeline_bpreshuffle_bdequant_v3ILNS_26BlockGemmPipelineSchedulerE0ELi256ENS_9f8_fnuz_tENS_7pk_i4_tES2_fNS_16TensorDescriptorINS_5TupleIJNS_5EmbedINS5_IJNS_17integral_constantIiLi8EEENS7_IiLi256EEENS7_IiLi16EEEEEENS5_IJSA_NS7_IiLi128EEENS7_IiLi1EEEEEELb0EEENS_3XorINS5_IJS9_S8_EEELb1EEENS_11PassThroughISA_EENS_7UnMergeINS5_IJS8_SD_EEELb0EEENSJ_IS9_EESK_NSJ_IS8_EENS_21Merge_v3_division_modINS5_IJS9_SD_EEEEESK_EEENS5_IJNS_8SequenceIJLi0EEEENSU_IJLi2ELi1EEEENSU_IJLi3EEEENSU_IJLi5EEEENSU_IJLi4EEEENSU_IJLi6EEEENSU_IJLi7EEEENSU_IJLi9ELi8EEEENSU_IJLi10EEEEEEENS5_IJNSU_IJLi1ELi2ELi3EEEENSU_IJLi4ELi5EEEES10_NSU_IJLi7ELi8EEEENSU_IJLi9EEEES13_NSU_IJLi11EEEENSU_IJLi12EEEENSU_IJLi13EEEEEEENSU_IJLi11ELi12ELi13EEEENS7_IlLl32768EEEEENS4_INS5_IJNSL_INS5_IJNS7_IiLi4EEESD_NS7_IiLi2EEENS7_IiLi32EEEEEELb0EEEEEENS5_IJSV_EEENS5_IJNSU_IJLi1ELi2ELi3ELi4EEEEEEES1N_NS7_IlLl256EEEEENS4_INS5_IJSF_SI_SK_SN_SO_SK_SP_SS_SK_NSQ_INS5_IJS8_SA_EEEEENSL_INS5_IJS8_S1H_SA_EEELb0EEEEEENS5_IJSV_SW_SX_SY_SZ_S10_S11_S12_S13_NSU_IJLi11ELi13EEEES1A_EEENS5_IJS15_S16_S10_S17_S18_S13_S19_S1A_S1B_NSU_IJLi14EEEENSU_IJLi15ELi16ELi17EEEEEEENSU_IJLi15ELi16ELi17ELi14EEEES1E_EENS4_INS5_IJS1K_NSQ_INS5_IJS1G_S1H_EEEEENSL_INS5_IJS1G_S1G_SA_EEELb0EEEEEENS5_IJSV_NSU_IJLi1ELi3EEEENSU_IJLi2EEEEEEENS5_IJS1N_SY_NSU_IJLi6ELi7ELi8EEEEEEENSU_IJLi6ELi7ELi8ELi5EEEES1P_EELi16ELi32ELi256ELi256ELi128ELi16ELi16ELi8ELi4ELi32ELb0EE3RunILb1ELNS_10TailNumberE1ENS4_INS5_IJNS6_INS5_IJiiEEENS5_IJiSD_EEELb0EEENSL_IS2I_Lb0EEENSJ_IiEEEEENS5_IJSV_S29_NSU_IJLi1EEEEEEENS5_IJNSU_IJLi1ELi2EEEENSU_IJLi3ELi4EEEESY_EEENSU_IJLi3ELi5ELi4EEEElEES1F_NS_35ThreadGroupTensorSliceTransfer_v4r1INS_15ThisThreadBlockILi256EEENS_16tensor_operation12element_wise11PassThroughES30_LNS_25InMemoryDataOperationEnumE0ENSU_IJLi8ELi256ELi16EEEENSU_IJLi8ELi32ELi1EEEENSU_IJLi1ELi0ELi2EEEES2_S2_RKS2U_KS1F_S34_NSU_IJLi0ELi1ELi2EEEELi2ELi2ELi16ELi16ELi1ELi1ELb0ELb1ELi2EiEENS_13DynamicBufferILNS_16AddressSpaceEnumE1EKS2_lLb1ELNS_22AmdBufferCoherenceEnumE0EiEENS5_IJNS3A_ILS3B_2ES2_S1E_Lb1ELS3D_0EiEES3F_EEENS5_IJiiiEEENS4_INS5_IJNS6_INS5_IJiiiiEEENS5_IJiiiSD_EEELb0EEEEEES1M_S1O_S1N_lEENS_32ThreadwiseTensorSliceTransfer_v2IS3_S3_RKS3M_KS1Q_NSU_IJLi4ELi1ELi2ELi32EEEENSU_IJLi1ELi2ELi0ELi3EEEELi3ELi32ELi0ELb1ELb0ELb0EEENS3A_ILS3B_1EKS3_lLb1ELS3D_0EiEENS5_IJNS_12StaticBufferILS3B_4ES3_Li256ELb1EEES3X_EEES3I_NS_25StaticBufferTupleOfVectorILS3B_4EfLi32ELi8ELb1ELb0EEEEEvRKT1_RKT2_RT3_RKT4_RT5_RKT6_RKT7_RT8_RKT9_RT10_RKT11_RT12_i
	.type	_ZNK2ck52BlockwiseGemmXdlops_pipeline_bpreshuffle_bdequant_v3ILNS_26BlockGemmPipelineSchedulerE0ELi256ENS_9f8_fnuz_tENS_7pk_i4_tES2_fNS_16TensorDescriptorINS_5TupleIJNS_5EmbedINS5_IJNS_17integral_constantIiLi8EEENS7_IiLi256EEENS7_IiLi16EEEEEENS5_IJSA_NS7_IiLi128EEENS7_IiLi1EEEEEELb0EEENS_3XorINS5_IJS9_S8_EEELb1EEENS_11PassThroughISA_EENS_7UnMergeINS5_IJS8_SD_EEELb0EEENSJ_IS9_EESK_NSJ_IS8_EENS_21Merge_v3_division_modINS5_IJS9_SD_EEEEESK_EEENS5_IJNS_8SequenceIJLi0EEEENSU_IJLi2ELi1EEEENSU_IJLi3EEEENSU_IJLi5EEEENSU_IJLi4EEEENSU_IJLi6EEEENSU_IJLi7EEEENSU_IJLi9ELi8EEEENSU_IJLi10EEEEEEENS5_IJNSU_IJLi1ELi2ELi3EEEENSU_IJLi4ELi5EEEES10_NSU_IJLi7ELi8EEEENSU_IJLi9EEEES13_NSU_IJLi11EEEENSU_IJLi12EEEENSU_IJLi13EEEEEEENSU_IJLi11ELi12ELi13EEEENS7_IlLl32768EEEEENS4_INS5_IJNSL_INS5_IJNS7_IiLi4EEESD_NS7_IiLi2EEENS7_IiLi32EEEEEELb0EEEEEENS5_IJSV_EEENS5_IJNSU_IJLi1ELi2ELi3ELi4EEEEEEES1N_NS7_IlLl256EEEEENS4_INS5_IJSF_SI_SK_SN_SO_SK_SP_SS_SK_NSQ_INS5_IJS8_SA_EEEEENSL_INS5_IJS8_S1H_SA_EEELb0EEEEEENS5_IJSV_SW_SX_SY_SZ_S10_S11_S12_S13_NSU_IJLi11ELi13EEEES1A_EEENS5_IJS15_S16_S10_S17_S18_S13_S19_S1A_S1B_NSU_IJLi14EEEENSU_IJLi15ELi16ELi17EEEEEEENSU_IJLi15ELi16ELi17ELi14EEEES1E_EENS4_INS5_IJS1K_NSQ_INS5_IJS1G_S1H_EEEEENSL_INS5_IJS1G_S1G_SA_EEELb0EEEEEENS5_IJSV_NSU_IJLi1ELi3EEEENSU_IJLi2EEEEEEENS5_IJS1N_SY_NSU_IJLi6ELi7ELi8EEEEEEENSU_IJLi6ELi7ELi8ELi5EEEES1P_EELi16ELi32ELi256ELi256ELi128ELi16ELi16ELi8ELi4ELi32ELb0EE3RunILb1ELNS_10TailNumberE1ENS4_INS5_IJNS6_INS5_IJiiEEENS5_IJiSD_EEELb0EEENSL_IS2I_Lb0EEENSJ_IiEEEEENS5_IJSV_S29_NSU_IJLi1EEEEEEENS5_IJNSU_IJLi1ELi2EEEENSU_IJLi3ELi4EEEESY_EEENSU_IJLi3ELi5ELi4EEEElEES1F_NS_35ThreadGroupTensorSliceTransfer_v4r1INS_15ThisThreadBlockILi256EEENS_16tensor_operation12element_wise11PassThroughES30_LNS_25InMemoryDataOperationEnumE0ENSU_IJLi8ELi256ELi16EEEENSU_IJLi8ELi32ELi1EEEENSU_IJLi1ELi0ELi2EEEES2_S2_RKS2U_KS1F_S34_NSU_IJLi0ELi1ELi2EEEELi2ELi2ELi16ELi16ELi1ELi1ELb0ELb1ELi2EiEENS_13DynamicBufferILNS_16AddressSpaceEnumE1EKS2_lLb1ELNS_22AmdBufferCoherenceEnumE0EiEENS5_IJNS3A_ILS3B_2ES2_S1E_Lb1ELS3D_0EiEES3F_EEENS5_IJiiiEEENS4_INS5_IJNS6_INS5_IJiiiiEEENS5_IJiiiSD_EEELb0EEEEEES1M_S1O_S1N_lEENS_32ThreadwiseTensorSliceTransfer_v2IS3_S3_RKS3M_KS1Q_NSU_IJLi4ELi1ELi2ELi32EEEENSU_IJLi1ELi2ELi0ELi3EEEELi3ELi32ELi0ELb1ELb0ELb0EEENS3A_ILS3B_1EKS3_lLb1ELS3D_0EiEENS5_IJNS_12StaticBufferILS3B_4ES3_Li256ELb1EEES3X_EEES3I_NS_25StaticBufferTupleOfVectorILS3B_4EfLi32ELi8ELb1ELb0EEEEEvRKT1_RKT2_RT3_RKT4_RT5_RKT6_RKT7_RT8_RKT9_RT10_RKT11_RT12_i,@function
_ZNK2ck52BlockwiseGemmXdlops_pipeline_bpreshuffle_bdequant_v3ILNS_26BlockGemmPipelineSchedulerE0ELi256ENS_9f8_fnuz_tENS_7pk_i4_tES2_fNS_16TensorDescriptorINS_5TupleIJNS_5EmbedINS5_IJNS_17integral_constantIiLi8EEENS7_IiLi256EEENS7_IiLi16EEEEEENS5_IJSA_NS7_IiLi128EEENS7_IiLi1EEEEEELb0EEENS_3XorINS5_IJS9_S8_EEELb1EEENS_11PassThroughISA_EENS_7UnMergeINS5_IJS8_SD_EEELb0EEENSJ_IS9_EESK_NSJ_IS8_EENS_21Merge_v3_division_modINS5_IJS9_SD_EEEEESK_EEENS5_IJNS_8SequenceIJLi0EEEENSU_IJLi2ELi1EEEENSU_IJLi3EEEENSU_IJLi5EEEENSU_IJLi4EEEENSU_IJLi6EEEENSU_IJLi7EEEENSU_IJLi9ELi8EEEENSU_IJLi10EEEEEEENS5_IJNSU_IJLi1ELi2ELi3EEEENSU_IJLi4ELi5EEEES10_NSU_IJLi7ELi8EEEENSU_IJLi9EEEES13_NSU_IJLi11EEEENSU_IJLi12EEEENSU_IJLi13EEEEEEENSU_IJLi11ELi12ELi13EEEENS7_IlLl32768EEEEENS4_INS5_IJNSL_INS5_IJNS7_IiLi4EEESD_NS7_IiLi2EEENS7_IiLi32EEEEEELb0EEEEEENS5_IJSV_EEENS5_IJNSU_IJLi1ELi2ELi3ELi4EEEEEEES1N_NS7_IlLl256EEEEENS4_INS5_IJSF_SI_SK_SN_SO_SK_SP_SS_SK_NSQ_INS5_IJS8_SA_EEEEENSL_INS5_IJS8_S1H_SA_EEELb0EEEEEENS5_IJSV_SW_SX_SY_SZ_S10_S11_S12_S13_NSU_IJLi11ELi13EEEES1A_EEENS5_IJS15_S16_S10_S17_S18_S13_S19_S1A_S1B_NSU_IJLi14EEEENSU_IJLi15ELi16ELi17EEEEEEENSU_IJLi15ELi16ELi17ELi14EEEES1E_EENS4_INS5_IJS1K_NSQ_INS5_IJS1G_S1H_EEEEENSL_INS5_IJS1G_S1G_SA_EEELb0EEEEEENS5_IJSV_NSU_IJLi1ELi3EEEENSU_IJLi2EEEEEEENS5_IJS1N_SY_NSU_IJLi6ELi7ELi8EEEEEEENSU_IJLi6ELi7ELi8ELi5EEEES1P_EELi16ELi32ELi256ELi256ELi128ELi16ELi16ELi8ELi4ELi32ELb0EE3RunILb1ELNS_10TailNumberE1ENS4_INS5_IJNS6_INS5_IJiiEEENS5_IJiSD_EEELb0EEENSL_IS2I_Lb0EEENSJ_IiEEEEENS5_IJSV_S29_NSU_IJLi1EEEEEEENS5_IJNSU_IJLi1ELi2EEEENSU_IJLi3ELi4EEEESY_EEENSU_IJLi3ELi5ELi4EEEElEES1F_NS_35ThreadGroupTensorSliceTransfer_v4r1INS_15ThisThreadBlockILi256EEENS_16tensor_operation12element_wise11PassThroughES30_LNS_25InMemoryDataOperationEnumE0ENSU_IJLi8ELi256ELi16EEEENSU_IJLi8ELi32ELi1EEEENSU_IJLi1ELi0ELi2EEEES2_S2_RKS2U_KS1F_S34_NSU_IJLi0ELi1ELi2EEEELi2ELi2ELi16ELi16ELi1ELi1ELb0ELb1ELi2EiEENS_13DynamicBufferILNS_16AddressSpaceEnumE1EKS2_lLb1ELNS_22AmdBufferCoherenceEnumE0EiEENS5_IJNS3A_ILS3B_2ES2_S1E_Lb1ELS3D_0EiEES3F_EEENS5_IJiiiEEENS4_INS5_IJNS6_INS5_IJiiiiEEENS5_IJiiiSD_EEELb0EEEEEES1M_S1O_S1N_lEENS_32ThreadwiseTensorSliceTransfer_v2IS3_S3_RKS3M_KS1Q_NSU_IJLi4ELi1ELi2ELi32EEEENSU_IJLi1ELi2ELi0ELi3EEEELi3ELi32ELi0ELb1ELb0ELb0EEENS3A_ILS3B_1EKS3_lLb1ELS3D_0EiEENS5_IJNS_12StaticBufferILS3B_4ES3_Li256ELb1EEES3X_EEES3I_NS_25StaticBufferTupleOfVectorILS3B_4EfLi32ELi8ELb1ELb0EEEEEvRKT1_RKT2_RT3_RKT4_RT5_RKT6_RKT7_RT8_RKT9_RT10_RKT11_RT12_i: ; @_ZNK2ck52BlockwiseGemmXdlops_pipeline_bpreshuffle_bdequant_v3ILNS_26BlockGemmPipelineSchedulerE0ELi256ENS_9f8_fnuz_tENS_7pk_i4_tES2_fNS_16TensorDescriptorINS_5TupleIJNS_5EmbedINS5_IJNS_17integral_constantIiLi8EEENS7_IiLi256EEENS7_IiLi16EEEEEENS5_IJSA_NS7_IiLi128EEENS7_IiLi1EEEEEELb0EEENS_3XorINS5_IJS9_S8_EEELb1EEENS_11PassThroughISA_EENS_7UnMergeINS5_IJS8_SD_EEELb0EEENSJ_IS9_EESK_NSJ_IS8_EENS_21Merge_v3_division_modINS5_IJS9_SD_EEEEESK_EEENS5_IJNS_8SequenceIJLi0EEEENSU_IJLi2ELi1EEEENSU_IJLi3EEEENSU_IJLi5EEEENSU_IJLi4EEEENSU_IJLi6EEEENSU_IJLi7EEEENSU_IJLi9ELi8EEEENSU_IJLi10EEEEEEENS5_IJNSU_IJLi1ELi2ELi3EEEENSU_IJLi4ELi5EEEES10_NSU_IJLi7ELi8EEEENSU_IJLi9EEEES13_NSU_IJLi11EEEENSU_IJLi12EEEENSU_IJLi13EEEEEEENSU_IJLi11ELi12ELi13EEEENS7_IlLl32768EEEEENS4_INS5_IJNSL_INS5_IJNS7_IiLi4EEESD_NS7_IiLi2EEENS7_IiLi32EEEEEELb0EEEEEENS5_IJSV_EEENS5_IJNSU_IJLi1ELi2ELi3ELi4EEEEEEES1N_NS7_IlLl256EEEEENS4_INS5_IJSF_SI_SK_SN_SO_SK_SP_SS_SK_NSQ_INS5_IJS8_SA_EEEEENSL_INS5_IJS8_S1H_SA_EEELb0EEEEEENS5_IJSV_SW_SX_SY_SZ_S10_S11_S12_S13_NSU_IJLi11ELi13EEEES1A_EEENS5_IJS15_S16_S10_S17_S18_S13_S19_S1A_S1B_NSU_IJLi14EEEENSU_IJLi15ELi16ELi17EEEEEEENSU_IJLi15ELi16ELi17ELi14EEEES1E_EENS4_INS5_IJS1K_NSQ_INS5_IJS1G_S1H_EEEEENSL_INS5_IJS1G_S1G_SA_EEELb0EEEEEENS5_IJSV_NSU_IJLi1ELi3EEEENSU_IJLi2EEEEEEENS5_IJS1N_SY_NSU_IJLi6ELi7ELi8EEEEEEENSU_IJLi6ELi7ELi8ELi5EEEES1P_EELi16ELi32ELi256ELi256ELi128ELi16ELi16ELi8ELi4ELi32ELb0EE3RunILb1ELNS_10TailNumberE1ENS4_INS5_IJNS6_INS5_IJiiEEENS5_IJiSD_EEELb0EEENSL_IS2I_Lb0EEENSJ_IiEEEEENS5_IJSV_S29_NSU_IJLi1EEEEEEENS5_IJNSU_IJLi1ELi2EEEENSU_IJLi3ELi4EEEESY_EEENSU_IJLi3ELi5ELi4EEEElEES1F_NS_35ThreadGroupTensorSliceTransfer_v4r1INS_15ThisThreadBlockILi256EEENS_16tensor_operation12element_wise11PassThroughES30_LNS_25InMemoryDataOperationEnumE0ENSU_IJLi8ELi256ELi16EEEENSU_IJLi8ELi32ELi1EEEENSU_IJLi1ELi0ELi2EEEES2_S2_RKS2U_KS1F_S34_NSU_IJLi0ELi1ELi2EEEELi2ELi2ELi16ELi16ELi1ELi1ELb0ELb1ELi2EiEENS_13DynamicBufferILNS_16AddressSpaceEnumE1EKS2_lLb1ELNS_22AmdBufferCoherenceEnumE0EiEENS5_IJNS3A_ILS3B_2ES2_S1E_Lb1ELS3D_0EiEES3F_EEENS5_IJiiiEEENS4_INS5_IJNS6_INS5_IJiiiiEEENS5_IJiiiSD_EEELb0EEEEEES1M_S1O_S1N_lEENS_32ThreadwiseTensorSliceTransfer_v2IS3_S3_RKS3M_KS1Q_NSU_IJLi4ELi1ELi2ELi32EEEENSU_IJLi1ELi2ELi0ELi3EEEELi3ELi32ELi0ELb1ELb0ELb0EEENS3A_ILS3B_1EKS3_lLb1ELS3D_0EiEENS5_IJNS_12StaticBufferILS3B_4ES3_Li256ELb1EEES3X_EEES3I_NS_25StaticBufferTupleOfVectorILS3B_4EfLi32ELi8ELb1ELb0EEEEEvRKT1_RKT2_RT3_RKT4_RT5_RKT6_RKT7_RT8_RKT9_RT10_RKT11_RT12_i
; %bb.0:
	s_wait_loadcnt_dscnt 0x0
	s_wait_expcnt 0x0
	s_wait_samplecnt 0x0
	s_wait_bvhcnt 0x0
	s_wait_kmcnt 0x0
	s_mov_b32 s16, s33
	s_mov_b32 s33, s32
	s_or_saveexec_b32 s0, -1
	scratch_store_b32 off, v40, s33 offset:1024 ; 4-byte Folded Spill
	s_wait_alu 0xfffe
	s_mov_b32 exec_lo, s0
	v_writelane_b32 v40, s30, 0
	s_addk_co_i32 s32, 0x410
	v_writelane_b32 v40, s31, 1
	v_dual_mov_b32 v53, v21 :: v_dual_mov_b32 v52, v20
	v_dual_mov_b32 v83, v19 :: v_dual_mov_b32 v82, v18
	;; [unrolled: 1-line block ×11, first 2 shown]
	; sched_barrier mask(0x00000000)
	flat_load_b128 v[0:3], v[68:69]
	s_clause 0x1
	flat_load_b128 v[4:7], v[80:81]
	flat_load_b64 v[8:9], v[80:81]
	s_mov_b32 s0, 0
	s_wait_alu 0xfffe
	s_mov_b32 s3, s0
	s_mov_b32 s1, s0
	;; [unrolled: 1-line block ×3, first 2 shown]
	s_wait_alu 0xfffe
	v_dual_mov_b32 v15, s3 :: v_dual_mov_b32 v14, s2
	v_dual_mov_b32 v13, s1 :: v_dual_mov_b32 v12, s0
	s_mov_b32 s1, exec_lo
	s_clause 0x1f
	scratch_store_b128 off, v[12:15], s33 offset:496
	scratch_store_b128 off, v[12:15], s33 offset:480
	;; [unrolled: 1-line block ×32, first 2 shown]
	s_clause 0x1e
	scratch_store_b128 off, v[12:15], s33 offset:992
	scratch_store_b128 off, v[12:15], s33 offset:976
	;; [unrolled: 1-line block ×31, first 2 shown]
	s_wait_loadcnt_dscnt 0x202
	v_lshrrev_b32_e32 v10, 31, v0
	s_wait_loadcnt_dscnt 0x101
	v_lshrrev_b32_e32 v16, 31, v7
	v_mov_b32_e32 v11, 0x31004000
	s_wait_loadcnt_dscnt 0x0
	v_and_b32_e32 v9, 0xffff, v9
	v_add_nc_u32_e32 v10, v0, v10
	v_add_co_u32 v16, vcc_lo, v6, v16
	s_wait_alu 0xfffd
	v_add_co_ci_u32_e64 v7, null, 0, v7, vcc_lo
	s_delay_alu instid0(VALU_DEP_3) | instskip(NEXT) | instid1(VALU_DEP_2)
	v_ashrrev_i32_e32 v6, 1, v10
	v_alignbit_b32 v10, v7, v16, 1
.LBB8_1:                                ; =>This Inner Loop Header: Depth=1
	v_readfirstlane_b32 s4, v8
	v_readfirstlane_b32 s5, v9
	s_delay_alu instid0(VALU_DEP_3) | instskip(SKIP_2) | instid1(VALU_DEP_3)
	v_readfirstlane_b32 s6, v10
	v_readfirstlane_b32 s7, v11
	s_wait_alu 0xf1ff
	v_cmp_eq_u64_e32 vcc_lo, s[4:5], v[8:9]
	s_delay_alu instid0(VALU_DEP_2)
	v_cmp_eq_u64_e64 s0, s[6:7], v[10:11]
	s_and_b32 s0, vcc_lo, s0
	s_wait_alu 0xfffe
	s_and_saveexec_b32 s0, s0
	s_wait_loadcnt 0x0
	buffer_load_b128 v[12:15], v6, s[4:7], null offen
                                        ; implicit-def: $vgpr6
	s_xor_b32 exec_lo, exec_lo, s0
	s_cbranch_execnz .LBB8_1
; %bb.2:
	s_mov_b32 exec_lo, s1
	v_add_nc_u32_e32 v6, 1, v1
	s_mov_b32 s1, exec_lo
	s_wait_loadcnt 0x0
	scratch_store_b128 off, v[12:15], s33
	flat_store_b32 v[68:69], v6 offset:4
	flat_load_b32 v7, v[70:71] offset:16
	s_wait_loadcnt_dscnt 0x0
	v_add_nc_u32_e32 v7, v7, v0
	s_delay_alu instid0(VALU_DEP_1) | instskip(SKIP_2) | instid1(VALU_DEP_1)
	v_lshrrev_b32_e32 v0, 31, v7
	flat_store_b32 v[68:69], v7
	v_add_nc_u32_e32 v0, v7, v0
	v_ashrrev_i32_e32 v0, 1, v0
.LBB8_3:                                ; =>This Inner Loop Header: Depth=1
	v_readfirstlane_b32 s4, v8
	v_readfirstlane_b32 s5, v9
	;; [unrolled: 1-line block ×4, first 2 shown]
	s_wait_alu 0xf1ff
	s_delay_alu instid0(VALU_DEP_3) | instskip(NEXT) | instid1(VALU_DEP_2)
	v_cmp_eq_u64_e32 vcc_lo, s[4:5], v[8:9]
	v_cmp_eq_u64_e64 s0, s[6:7], v[10:11]
	s_and_b32 s0, vcc_lo, s0
	s_wait_alu 0xfffe
	s_and_saveexec_b32 s0, s0
	s_wait_loadcnt 0x0
	buffer_load_b128 v[12:15], v0, s[4:7], null offen
                                        ; implicit-def: $vgpr0
	s_xor_b32 exec_lo, exec_lo, s0
	s_cbranch_execnz .LBB8_3
; %bb.4:
	s_mov_b32 exec_lo, s1
	v_add_nc_u32_e32 v0, 2, v1
	s_mov_b32 s1, exec_lo
	s_wait_loadcnt 0x0
	scratch_store_b128 off, v[12:15], s33 offset:64
	flat_store_b32 v[68:69], v0 offset:4
	flat_load_b32 v16, v[70:71] offset:16
	s_wait_loadcnt_dscnt 0x0
	v_add_nc_u32_e32 v7, v16, v7
	s_delay_alu instid0(VALU_DEP_1) | instskip(SKIP_2) | instid1(VALU_DEP_1)
	v_lshrrev_b32_e32 v16, 31, v7
	flat_store_b32 v[68:69], v7
	v_add_nc_u32_e32 v16, v7, v16
	v_ashrrev_i32_e32 v16, 1, v16
.LBB8_5:                                ; =>This Inner Loop Header: Depth=1
	v_readfirstlane_b32 s4, v8
	v_readfirstlane_b32 s5, v9
	v_readfirstlane_b32 s6, v10
	v_readfirstlane_b32 s7, v11
	s_wait_alu 0xf1ff
	s_delay_alu instid0(VALU_DEP_3) | instskip(NEXT) | instid1(VALU_DEP_2)
	v_cmp_eq_u64_e32 vcc_lo, s[4:5], v[8:9]
	v_cmp_eq_u64_e64 s0, s[6:7], v[10:11]
	s_and_b32 s0, vcc_lo, s0
	s_wait_alu 0xfffe
	s_and_saveexec_b32 s0, s0
	s_wait_loadcnt 0x0
	buffer_load_b128 v[12:15], v16, s[4:7], null offen
                                        ; implicit-def: $vgpr16
	s_xor_b32 exec_lo, exec_lo, s0
	s_cbranch_execnz .LBB8_5
; %bb.6:
	s_mov_b32 exec_lo, s1
	v_add_nc_u32_e32 v16, 3, v1
	s_mov_b32 s1, exec_lo
	s_wait_loadcnt 0x0
	scratch_store_b128 off, v[12:15], s33 offset:128
	flat_store_b32 v[68:69], v16 offset:4
	flat_load_b32 v16, v[70:71] offset:16
	s_wait_loadcnt_dscnt 0x0
	v_add_nc_u32_e32 v7, v16, v7
	s_delay_alu instid0(VALU_DEP_1) | instskip(SKIP_2) | instid1(VALU_DEP_1)
	v_lshrrev_b32_e32 v16, 31, v7
	flat_store_b32 v[68:69], v7
	v_add_nc_u32_e32 v16, v7, v16
	v_ashrrev_i32_e32 v16, 1, v16
.LBB8_7:                                ; =>This Inner Loop Header: Depth=1
	v_readfirstlane_b32 s4, v8
	v_readfirstlane_b32 s5, v9
	v_readfirstlane_b32 s6, v10
	v_readfirstlane_b32 s7, v11
	s_wait_alu 0xf1ff
	s_delay_alu instid0(VALU_DEP_3) | instskip(NEXT) | instid1(VALU_DEP_2)
	v_cmp_eq_u64_e32 vcc_lo, s[4:5], v[8:9]
	v_cmp_eq_u64_e64 s0, s[6:7], v[10:11]
	s_and_b32 s0, vcc_lo, s0
	s_wait_alu 0xfffe
	s_and_saveexec_b32 s0, s0
	s_wait_loadcnt 0x0
	buffer_load_b128 v[12:15], v16, s[4:7], null offen
                                        ; implicit-def: $vgpr16
	s_xor_b32 exec_lo, exec_lo, s0
	s_cbranch_execnz .LBB8_7
	;; [unrolled: 32-line block ×3, first 2 shown]
; %bb.10:
	s_mov_b32 exec_lo, s1
	flat_store_b32 v[68:69], v0 offset:4
	flat_load_b32 v0, v[70:71] offset:16
	s_mov_b32 s1, exec_lo
	s_wait_loadcnt 0x1
	scratch_store_b128 off, v[12:15], s33 offset:224
	s_wait_loadcnt_dscnt 0x0
	v_sub_nc_u32_e32 v0, v7, v0
	s_delay_alu instid0(VALU_DEP_1) | instskip(SKIP_2) | instid1(VALU_DEP_1)
	v_lshrrev_b32_e32 v7, 31, v0
	flat_store_b32 v[68:69], v0
	v_add_nc_u32_e32 v7, v0, v7
	v_ashrrev_i32_e32 v7, 1, v7
.LBB8_11:                               ; =>This Inner Loop Header: Depth=1
	v_readfirstlane_b32 s4, v8
	v_readfirstlane_b32 s5, v9
	;; [unrolled: 1-line block ×4, first 2 shown]
	s_wait_alu 0xf1ff
	s_delay_alu instid0(VALU_DEP_3) | instskip(NEXT) | instid1(VALU_DEP_2)
	v_cmp_eq_u64_e32 vcc_lo, s[4:5], v[8:9]
	v_cmp_eq_u64_e64 s0, s[6:7], v[10:11]
	s_and_b32 s0, vcc_lo, s0
	s_wait_alu 0xfffe
	s_and_saveexec_b32 s0, s0
	s_wait_loadcnt 0x0
	buffer_load_b128 v[12:15], v7, s[4:7], null offen
                                        ; implicit-def: $vgpr8_vgpr9_vgpr10_vgpr11
                                        ; implicit-def: $vgpr7
	s_xor_b32 exec_lo, exec_lo, s0
	s_cbranch_execnz .LBB8_11
; %bb.12:
	s_mov_b32 exec_lo, s1
	flat_store_b32 v[68:69], v6 offset:4
	flat_load_b32 v8, v[70:71] offset:16
	flat_load_b64 v[6:7], v[80:81] offset:8
	v_and_b32_e32 v5, 0xffff, v5
	s_mov_b32 s1, exec_lo
	s_wait_loadcnt 0x2
	scratch_store_b128 off, v[12:15], s33 offset:160
	s_wait_loadcnt_dscnt 0x101
	v_sub_nc_u32_e32 v0, v0, v8
	s_wait_loadcnt_dscnt 0x0
	v_lshrrev_b32_e32 v8, 31, v7
	s_delay_alu instid0(VALU_DEP_2) | instskip(NEXT) | instid1(VALU_DEP_2)
	v_lshrrev_b32_e32 v9, 31, v0
	v_add_co_u32 v6, vcc_lo, v6, v8
	s_wait_alu 0xfffd
	v_add_co_ci_u32_e64 v7, null, 0, v7, vcc_lo
	s_delay_alu instid0(VALU_DEP_3)
	v_add_nc_u32_e32 v8, v0, v9
	flat_store_b32 v[68:69], v0
	v_alignbit_b32 v6, v7, v6, 1
	v_mov_b32_e32 v7, 0x31004000
	v_ashrrev_i32_e32 v16, 1, v8
.LBB8_13:                               ; =>This Inner Loop Header: Depth=1
	v_readfirstlane_b32 s4, v4
	v_readfirstlane_b32 s5, v5
	;; [unrolled: 1-line block ×4, first 2 shown]
	s_wait_alu 0xf1ff
	s_delay_alu instid0(VALU_DEP_3) | instskip(NEXT) | instid1(VALU_DEP_2)
	v_cmp_eq_u64_e32 vcc_lo, s[4:5], v[4:5]
	v_cmp_eq_u64_e64 s0, s[6:7], v[6:7]
	s_and_b32 s0, vcc_lo, s0
	s_wait_alu 0xfffe
	s_and_saveexec_b32 s0, s0
	s_wait_loadcnt 0x0
	buffer_load_b128 v[8:11], v16, s[4:7], null offen
                                        ; implicit-def: $vgpr16
	s_xor_b32 exec_lo, exec_lo, s0
	s_cbranch_execnz .LBB8_13
; %bb.14:
	s_mov_b32 exec_lo, s1
	flat_store_b32 v[68:69], v1 offset:4
	flat_load_b32 v12, v[70:71] offset:16
	s_mov_b32 s1, exec_lo
	s_wait_loadcnt 0x1
	scratch_store_b128 off, v[8:11], s33 offset:96
	s_wait_loadcnt_dscnt 0x0
	v_sub_nc_u32_e32 v0, v0, v12
	s_delay_alu instid0(VALU_DEP_1) | instskip(SKIP_2) | instid1(VALU_DEP_1)
	v_lshrrev_b32_e32 v12, 31, v0
	flat_store_b32 v[68:69], v0
	v_add_nc_u32_e32 v12, v0, v12
	v_ashrrev_i32_e32 v12, 1, v12
.LBB8_15:                               ; =>This Inner Loop Header: Depth=1
	v_readfirstlane_b32 s4, v4
	v_readfirstlane_b32 s5, v5
	;; [unrolled: 1-line block ×4, first 2 shown]
	s_wait_alu 0xf1ff
	s_delay_alu instid0(VALU_DEP_3) | instskip(NEXT) | instid1(VALU_DEP_2)
	v_cmp_eq_u64_e32 vcc_lo, s[4:5], v[4:5]
	v_cmp_eq_u64_e64 s0, s[6:7], v[6:7]
	s_and_b32 s0, vcc_lo, s0
	s_wait_alu 0xfffe
	s_and_saveexec_b32 s0, s0
	s_wait_loadcnt 0x0
	buffer_load_b128 v[8:11], v12, s[4:7], null offen
                                        ; implicit-def: $vgpr4_vgpr5_vgpr6_vgpr7
                                        ; implicit-def: $vgpr12
	s_xor_b32 exec_lo, exec_lo, s0
	s_cbranch_execnz .LBB8_15
; %bb.16:
	s_mov_b32 exec_lo, s1
	flat_store_b32 v[68:69], v3 offset:12
	flat_load_b32 v4, v[70:71] offset:24
	s_mov_b32 s0, exec_lo
	s_wait_loadcnt_dscnt 0x0
	v_sub_nc_u32_e32 v0, v0, v4
	flat_store_b32 v[68:69], v0
	flat_load_b128 v[4:7], v[82:83]
	flat_load_b32 v15, v[68:69] offset:16
	s_wait_loadcnt_dscnt 0x101
	v_or_b32_e32 v12, v5, v4
	v_add_nc_u32_e32 v13, v2, v5
	v_add_nc_u32_e32 v14, v6, v3
	s_wait_loadcnt_dscnt 0x0
	v_add_nc_u32_e32 v15, v15, v7
	v_or3_b32 v16, v12, v6, v7
	v_add_nc_u32_e32 v12, v4, v1
	scratch_store_b128 off, v[8:11], s33 offset:32
	flat_store_b128 v[68:69], v[12:15] offset:4
	v_cmpx_ne_u32_e32 0, v16
	s_cbranch_execz .LBB8_18
; %bb.17:
	flat_load_b96 v[1:3], v[70:71] offset:16
	s_wait_loadcnt_dscnt 0x0
	v_mul_lo_u32 v1, v1, v4
	v_mul_lo_u32 v2, v2, v5
	;; [unrolled: 1-line block ×3, first 2 shown]
	s_delay_alu instid0(VALU_DEP_3) | instskip(NEXT) | instid1(VALU_DEP_1)
	v_add3_u32 v0, v0, v7, v1
	v_add3_u32 v0, v0, v2, v3
	flat_store_b32 v[68:69], v0
.LBB8_18:
	s_wait_alu 0xfffe
	s_or_b32 exec_lo, exec_lo, s0
	v_mov_b32_e32 v13, 1
	s_mov_b32 s1, exec_lo
	flat_store_b8 v[66:67], v13 offset:288
	flat_load_b128 v[0:3], v[86:87]
	flat_load_b64 v[11:12], v[66:67] offset:704
	s_wait_loadcnt_dscnt 0x101
	v_mov_b32_e32 v3, 0x31004000
	v_and_b32_e32 v1, 0xffff, v1
.LBB8_19:                               ; =>This Inner Loop Header: Depth=1
	v_readfirstlane_b32 s4, v0
	s_delay_alu instid0(VALU_DEP_2) | instskip(SKIP_3) | instid1(VALU_DEP_3)
	v_readfirstlane_b32 s5, v1
	v_readfirstlane_b32 s6, v2
	v_readfirstlane_b32 s7, v3
	s_wait_alu 0xf1ff
	v_cmp_eq_u64_e32 vcc_lo, s[4:5], v[0:1]
	s_delay_alu instid0(VALU_DEP_2)
	v_cmp_eq_u64_e64 s0, s[6:7], v[2:3]
	s_and_b32 s0, vcc_lo, s0
	s_wait_alu 0xfffe
	s_and_saveexec_b32 s0, s0
	s_wait_loadcnt_dscnt 0x0
	buffer_load_b128 v[4:7], v11, s[4:7], null offen
                                        ; implicit-def: $vgpr0_vgpr1_vgpr2_vgpr3
	s_xor_b32 exec_lo, exec_lo, s0
	s_cbranch_execnz .LBB8_19
; %bb.20:
	s_mov_b32 exec_lo, s1
	flat_load_b96 v[8:10], v[66:67] offset:716
	v_add_nc_u32_e32 v1, 1, v12
	s_mov_b32 s1, exec_lo
	s_wait_loadcnt_dscnt 0x0
	v_add_nc_u32_e32 v0, 1, v10
	s_clause 0x2
	flat_store_b128 v[66:67], v[4:7]
	flat_store_b32 v[66:67], v0 offset:724
	flat_store_b32 v[66:67], v1 offset:708
	flat_load_b32 v0, v[96:97] offset:8
	s_wait_loadcnt_dscnt 0x0
	v_add_nc_u32_e32 v11, v0, v11
	s_clause 0x1
	flat_store_b32 v[66:67], v11 offset:704
	flat_store_b8 v[66:67], v13 offset:304
	flat_load_b128 v[0:3], v[86:87]
	s_wait_loadcnt_dscnt 0x0
	v_mov_b32_e32 v3, 0x31004000
	v_and_b32_e32 v1, 0xffff, v1
.LBB8_21:                               ; =>This Inner Loop Header: Depth=1
	v_readfirstlane_b32 s4, v0
	s_delay_alu instid0(VALU_DEP_2) | instskip(SKIP_3) | instid1(VALU_DEP_3)
	v_readfirstlane_b32 s5, v1
	v_readfirstlane_b32 s6, v2
	v_readfirstlane_b32 s7, v3
	s_wait_alu 0xf1ff
	v_cmp_eq_u64_e32 vcc_lo, s[4:5], v[0:1]
	s_delay_alu instid0(VALU_DEP_2)
	v_cmp_eq_u64_e64 s0, s[6:7], v[2:3]
	s_and_b32 s0, vcc_lo, s0
	s_wait_alu 0xfffe
	s_and_saveexec_b32 s0, s0
	s_wait_loadcnt 0x0
	buffer_load_b128 v[4:7], v11, s[4:7], null offen
                                        ; implicit-def: $vgpr0_vgpr1_vgpr2_vgpr3
	s_xor_b32 exec_lo, exec_lo, s0
	s_cbranch_execnz .LBB8_21
; %bb.22:
	s_mov_b32 exec_lo, s1
	v_add_nc_u32_e32 v0, 2, v10
	v_add_nc_u32_e32 v1, 2, v12
	s_mov_b32 s1, exec_lo
	s_wait_loadcnt 0x0
	s_clause 0x2
	flat_store_b128 v[66:67], v[4:7] offset:16
	flat_store_b32 v[66:67], v0 offset:724
	flat_store_b32 v[66:67], v1 offset:708
	flat_load_b32 v0, v[96:97] offset:8
	s_wait_loadcnt_dscnt 0x0
	v_add_nc_u32_e32 v11, v0, v11
	s_clause 0x1
	flat_store_b32 v[66:67], v11 offset:704
	flat_store_b8 v[66:67], v13 offset:320
	flat_load_b128 v[0:3], v[86:87]
	s_wait_loadcnt_dscnt 0x0
	v_mov_b32_e32 v3, 0x31004000
	v_and_b32_e32 v1, 0xffff, v1
.LBB8_23:                               ; =>This Inner Loop Header: Depth=1
	v_readfirstlane_b32 s4, v0
	s_delay_alu instid0(VALU_DEP_2) | instskip(SKIP_3) | instid1(VALU_DEP_3)
	v_readfirstlane_b32 s5, v1
	v_readfirstlane_b32 s6, v2
	v_readfirstlane_b32 s7, v3
	s_wait_alu 0xf1ff
	v_cmp_eq_u64_e32 vcc_lo, s[4:5], v[0:1]
	s_delay_alu instid0(VALU_DEP_2)
	v_cmp_eq_u64_e64 s0, s[6:7], v[2:3]
	s_and_b32 s0, vcc_lo, s0
	s_wait_alu 0xfffe
	s_and_saveexec_b32 s0, s0
	s_wait_loadcnt 0x0
	buffer_load_b128 v[4:7], v11, s[4:7], null offen
                                        ; implicit-def: $vgpr0_vgpr1_vgpr2_vgpr3
	s_xor_b32 exec_lo, exec_lo, s0
	s_cbranch_execnz .LBB8_23
; %bb.24:
	s_mov_b32 exec_lo, s1
	v_add_nc_u32_e32 v0, 3, v10
	v_add_nc_u32_e32 v1, 3, v12
	s_mov_b32 s1, exec_lo
	s_wait_loadcnt 0x0
	s_clause 0x2
	flat_store_b128 v[66:67], v[4:7] offset:32
	;; [unrolled: 38-line block ×6, first 2 shown]
	flat_store_b32 v[66:67], v0 offset:724
	flat_store_b32 v[66:67], v1 offset:708
	flat_load_b32 v0, v[96:97] offset:8
	s_wait_loadcnt_dscnt 0x0
	v_add_nc_u32_e32 v11, v0, v11
	flat_store_b32 v[66:67], v11 offset:704
	flat_load_b128 v[0:3], v[86:87]
	s_wait_loadcnt_dscnt 0x0
	v_mov_b32_e32 v3, 0x31004000
	flat_store_b8 v[66:67], v13 offset:400
	v_and_b32_e32 v1, 0xffff, v1
.LBB8_33:                               ; =>This Inner Loop Header: Depth=1
	v_readfirstlane_b32 s4, v0
	s_delay_alu instid0(VALU_DEP_2) | instskip(SKIP_3) | instid1(VALU_DEP_3)
	v_readfirstlane_b32 s5, v1
	v_readfirstlane_b32 s6, v2
	;; [unrolled: 1-line block ×3, first 2 shown]
	s_wait_alu 0xf1ff
	v_cmp_eq_u64_e32 vcc_lo, s[4:5], v[0:1]
	s_delay_alu instid0(VALU_DEP_2)
	v_cmp_eq_u64_e64 s0, s[6:7], v[2:3]
	s_and_b32 s0, vcc_lo, s0
	s_wait_alu 0xfffe
	s_and_saveexec_b32 s0, s0
	s_wait_loadcnt 0x0
	buffer_load_b128 v[4:7], v11, s[4:7], null offen
                                        ; implicit-def: $vgpr0_vgpr1_vgpr2_vgpr3
	s_xor_b32 exec_lo, exec_lo, s0
	s_cbranch_execnz .LBB8_33
; %bb.34:
	s_mov_b32 exec_lo, s1
	s_wait_loadcnt 0x0
	flat_store_b128 v[66:67], v[4:7] offset:112
	flat_load_b96 v[0:2], v[84:85]
	s_mov_b32 s0, exec_lo
	s_wait_loadcnt_dscnt 0x0
	v_add_nc_u32_e32 v3, -7, v1
	v_add_nc_u32_e32 v4, v8, v0
	v_add_nc_u32_e32 v6, v1, v10
	;; [unrolled: 1-line block ×3, first 2 shown]
	flat_store_b96 v[66:67], v[4:6] offset:716
	v_cmpx_ne_u32_e32 0, v3
	s_cbranch_execz .LBB8_36
; %bb.35:
	v_add_nc_u32_e32 v1, v12, v1
	flat_store_b32 v[66:67], v1 offset:708
.LBB8_36:
	s_wait_alu 0xfffe
	s_or_b32 exec_lo, exec_lo, s0
	v_or_b32_e32 v4, v2, v0
	v_mov_b32_e32 v1, 0
	s_mov_b32 s0, exec_lo
	s_delay_alu instid0(VALU_DEP_2)
	v_cmpx_ne_u32_e32 0, v4
	s_cbranch_execz .LBB8_38
; %bb.37:
	flat_load_b32 v5, v[96:97] offset:24
	flat_load_b32 v6, v[66:67] offset:712
	v_mov_b32_e32 v1, v2
	s_wait_loadcnt_dscnt 0x101
	s_delay_alu instid0(VALU_DEP_1) | instskip(SKIP_1) | instid1(VALU_DEP_1)
	v_mad_co_u64_u32 v[1:2], null, v5, v0, v[1:2]
	s_wait_loadcnt_dscnt 0x0
	v_add_nc_u32_e32 v0, v1, v6
	flat_store_b32 v[66:67], v0 offset:712
.LBB8_38:
	s_wait_alu 0xfffe
	s_or_b32 exec_lo, exec_lo, s0
	v_or_b32_e32 v0, v4, v3
	s_mov_b32 s0, exec_lo
	s_delay_alu instid0(VALU_DEP_1)
	v_cmpx_ne_u32_e32 0, v0
	s_cbranch_execz .LBB8_40
; %bb.39:
	flat_load_b32 v0, v[96:97] offset:8
	s_wait_loadcnt_dscnt 0x0
	v_mul_lo_u32 v0, v0, v3
	s_delay_alu instid0(VALU_DEP_1)
	v_add3_u32 v0, v11, v1, v0
	flat_store_b32 v[66:67], v0 offset:704
.LBB8_40:
	s_wait_alu 0xfffe
	s_or_b32 exec_lo, exec_lo, s0
	; sched_barrier mask(0x00000000)
	s_clause 0x10
	flat_load_u8 v20, v[66:67] offset:336
	flat_load_u8 v21, v[66:67] offset:352
	;; [unrolled: 1-line block ×5, first 2 shown]
	flat_load_b128 v[0:3], v[66:67] offset:48
	flat_load_b128 v[4:7], v[66:67] offset:64
	;; [unrolled: 1-line block ×5, first 2 shown]
	flat_load_u8 v38, v[66:67] offset:288
	flat_load_u8 v39, v[66:67] offset:304
	;; [unrolled: 1-line block ×3, first 2 shown]
	flat_load_b128 v[23:26], v[66:67] offset:32
	flat_load_b128 v[27:30], v[66:67]
	flat_load_b128 v[31:34], v[66:67] offset:16
	flat_load_b32 v49, v[66:67] offset:728
	s_wait_loadcnt_dscnt 0x1010
	v_and_b32_e32 v20, 1, v20
	s_delay_alu instid0(VALU_DEP_1)
	v_cmp_eq_u32_e32 vcc_lo, 1, v20
	s_wait_loadcnt_dscnt 0xf0f
	v_and_b32_e32 v21, 1, v21
	s_wait_loadcnt_dscnt 0xe0e
	v_and_b32_e32 v35, 1, v35
	s_wait_loadcnt_dscnt 0xb0b
	s_wait_alu 0xfffd
	v_dual_cndmask_b32 v1, 0, v1 :: v_dual_and_b32 v36, 1, v36
	s_wait_loadcnt_dscnt 0x404
	v_dual_cndmask_b32 v3, 0, v3 :: v_dual_and_b32 v20, 1, v48
	v_cndmask_b32_e32 v2, 0, v2, vcc_lo
	v_cndmask_b32_e32 v0, 0, v0, vcc_lo
	v_cmp_eq_u32_e64 s1, 1, v35
	v_cmp_eq_u32_e64 s2, 1, v36
	v_cmp_eq_u32_e32 vcc_lo, 1, v20
	v_and_b32_e32 v37, 1, v37
	v_cmp_eq_u32_e64 s0, 1, v21
	s_wait_alu 0xf1ff
	v_cndmask_b32_e64 v11, 0, v11, s1
	v_cndmask_b32_e64 v15, 0, v15, s2
	s_wait_loadcnt_dscnt 0x303
	s_wait_alu 0xfffd
	v_cndmask_b32_e32 v26, 0, v26, vcc_lo
	v_cmp_eq_u32_e64 s3, 1, v37
	v_cndmask_b32_e64 v10, 0, v10, s1
	v_cndmask_b32_e64 v9, 0, v9, s1
	;; [unrolled: 1-line block ×4, first 2 shown]
	s_wait_alu 0xf1ff
	v_cndmask_b32_e64 v19, 0, v19, s3
	v_cndmask_b32_e64 v13, 0, v13, s2
	;; [unrolled: 1-line block ×10, first 2 shown]
	s_clause 0x4
	flat_store_b128 v[66:67], v[0:3] offset:48
	flat_store_b128 v[66:67], v[4:7] offset:64
	flat_store_b128 v[66:67], v[8:11] offset:80
	flat_store_b128 v[66:67], v[12:15] offset:96
	flat_store_b128 v[66:67], v[16:19] offset:112
	s_clause 0x4
	flat_load_b128 v[3:6], v[66:67] offset:60
	flat_load_b128 v[7:10], v[66:67] offset:76
	flat_load_b128 v[11:14], v[66:67] offset:92
	flat_load_b128 v[15:18], v[66:67] offset:108
	flat_load_b32 v19, v[66:67] offset:124
	v_dual_cndmask_b32 v24, 0, v24 :: v_dual_and_b32 v21, 1, v39
	v_dual_cndmask_b32 v23, 0, v23 :: v_dual_and_b32 v20, 1, v38
	v_cndmask_b32_e32 v25, 0, v25, vcc_lo
	s_delay_alu instid0(VALU_DEP_3)
	v_cmp_eq_u32_e64 s0, 1, v21
	s_mov_b32 s1, exec_lo
	v_cmp_eq_u32_e32 vcc_lo, 1, v20
	s_wait_loadcnt_dscnt 0x60b
	s_wait_alu 0xf1ff
	v_cndmask_b32_e64 v34, 0, v34, s0
	v_cndmask_b32_e64 v33, 0, v33, s0
	;; [unrolled: 1-line block ×4, first 2 shown]
	s_wait_alu 0xfffd
	v_dual_cndmask_b32 v30, 0, v30 :: v_dual_cndmask_b32 v29, 0, v29
	v_dual_cndmask_b32 v28, 0, v28 :: v_dual_cndmask_b32 v27, 0, v27
	flat_store_b128 v[66:67], v[31:34] offset:16
	v_perm_b32 v31, v31, v31, 0x3020104
	s_clause 0x4
	flat_store_b128 v[66:67], v[23:26] offset:32
	flat_store_b128 v[66:67], v[27:30]
	flat_store_b128 v[66:67], v[27:30] offset:560
	flat_store_b128 v[66:67], v[31:34] offset:576
	;; [unrolled: 1-line block ×3, first 2 shown]
	s_wait_loadcnt_dscnt 0x40a
	flat_store_b128 v[66:67], v[0:3] offset:608
	s_wait_loadcnt_dscnt 0x30a
	flat_store_b128 v[66:67], v[4:7] offset:624
	;; [unrolled: 2-line block ×5, first 2 shown]
	flat_load_b64 v[0:1], v[54:55]
	v_ashrrev_i32_e32 v2, 31, v49
	s_wait_loadcnt_dscnt 0x0
	v_add_co_u32 v0, vcc_lo, v0, v49
	s_wait_alu 0xfffd
	s_delay_alu instid0(VALU_DEP_2)
	v_add_co_ci_u32_e64 v1, null, v1, v2, vcc_lo
	flat_store_b128 v[0:1], v[27:30]
	s_clause 0x4
	flat_load_b32 v7, v[66:67] offset:776
	flat_load_b32 v8, v[66:67] offset:764
	;; [unrolled: 1-line block ×3, first 2 shown]
	flat_load_b128 v[0:3], v[66:67] offset:748
	flat_load_b96 v[4:6], v[66:67] offset:728
	s_wait_loadcnt_dscnt 0x404
	v_add_nc_u32_e32 v10, 1, v7
	s_wait_loadcnt_dscnt 0x101
	v_sub_nc_u32_e32 v12, v0, v3
	s_delay_alu instid0(VALU_DEP_2) | instskip(NEXT) | instid1(VALU_DEP_1)
	v_sub_nc_u32_e32 v1, v10, v8
	v_add_nc_u32_e32 v11, v9, v1
	v_mov_b32_e32 v9, 0
	s_delay_alu instid0(VALU_DEP_2) | instskip(SKIP_3) | instid1(VALU_DEP_3)
	v_ashrrev_i32_e32 v1, 31, v11
	v_mov_b32_e32 v8, v11
	s_wait_loadcnt_dscnt 0x0
	v_sub_nc_u32_e32 v6, v11, v6
	v_lshrrev_b32_e32 v1, 29, v1
	s_delay_alu instid0(VALU_DEP_2) | instskip(NEXT) | instid1(VALU_DEP_2)
	v_lshlrev_b32_e32 v6, 7, v6
	v_add_nc_u32_e32 v1, v11, v1
	s_delay_alu instid0(VALU_DEP_1) | instskip(NEXT) | instid1(VALU_DEP_1)
	v_and_b32_e32 v1, -8, v1
	v_sub_nc_u32_e32 v0, v11, v1
	s_delay_alu instid0(VALU_DEP_1) | instskip(SKIP_2) | instid1(VALU_DEP_1)
	v_xor_b32_e32 v7, v12, v0
	flat_load_b128 v[0:3], v[66:67] offset:576
	v_sub_nc_u32_e32 v5, v7, v5
	v_lshlrev_b32_e32 v5, 4, v5
	s_delay_alu instid0(VALU_DEP_1)
	v_add3_u32 v6, v6, v5, v4
	s_clause 0x3
	flat_store_b32 v[66:67], v10 offset:776
	flat_store_b64 v[66:67], v[9:10] offset:760
	flat_store_b64 v[66:67], v[11:12] offset:744
	flat_store_b96 v[66:67], v[6:8] offset:728
	flat_load_b64 v[4:5], v[54:55]
	v_ashrrev_i32_e32 v7, 31, v6
	s_wait_loadcnt_dscnt 0x0
	v_add_co_u32 v4, vcc_lo, v4, v6
	s_wait_alu 0xfffd
	s_delay_alu instid0(VALU_DEP_2)
	v_add_co_ci_u32_e64 v5, null, v5, v7, vcc_lo
	flat_store_b128 v[4:5], v[0:3]
	s_clause 0x4
	flat_load_b32 v7, v[66:67] offset:776
	flat_load_b32 v8, v[66:67] offset:764
	flat_load_b32 v11, v[66:67] offset:744
	flat_load_b128 v[0:3], v[66:67] offset:748
	flat_load_b96 v[4:6], v[66:67] offset:728
	s_wait_loadcnt_dscnt 0x404
	v_add_nc_u32_e32 v10, 1, v7
	s_wait_loadcnt_dscnt 0x101
	v_sub_nc_u32_e32 v12, v0, v3
	s_delay_alu instid0(VALU_DEP_2) | instskip(NEXT) | instid1(VALU_DEP_1)
	v_sub_nc_u32_e32 v1, v10, v8
	v_add_nc_u32_e32 v11, v11, v1
	s_delay_alu instid0(VALU_DEP_1) | instskip(SKIP_3) | instid1(VALU_DEP_3)
	v_ashrrev_i32_e32 v1, 31, v11
	s_wait_loadcnt_dscnt 0x0
	v_sub_nc_u32_e32 v6, v11, v6
	v_mov_b32_e32 v8, v11
	v_lshrrev_b32_e32 v1, 29, v1
	s_delay_alu instid0(VALU_DEP_3) | instskip(NEXT) | instid1(VALU_DEP_2)
	v_lshlrev_b32_e32 v6, 7, v6
	v_add_nc_u32_e32 v1, v11, v1
	s_delay_alu instid0(VALU_DEP_1) | instskip(NEXT) | instid1(VALU_DEP_1)
	v_and_b32_e32 v1, -8, v1
	v_sub_nc_u32_e32 v0, v11, v1
	s_delay_alu instid0(VALU_DEP_1) | instskip(SKIP_2) | instid1(VALU_DEP_1)
	v_xor_b32_e32 v7, v12, v0
	flat_load_b128 v[0:3], v[66:67] offset:592
	v_sub_nc_u32_e32 v5, v7, v5
	v_lshlrev_b32_e32 v5, 4, v5
	s_delay_alu instid0(VALU_DEP_1)
	v_add3_u32 v6, v6, v5, v4
	s_clause 0x3
	flat_store_b32 v[66:67], v10 offset:776
	flat_store_b64 v[66:67], v[9:10] offset:760
	flat_store_b64 v[66:67], v[11:12] offset:744
	flat_store_b96 v[66:67], v[6:8] offset:728
	flat_load_b64 v[4:5], v[54:55]
	v_ashrrev_i32_e32 v7, 31, v6
	s_wait_loadcnt_dscnt 0x0
	v_add_co_u32 v4, vcc_lo, v4, v6
	s_wait_alu 0xfffd
	s_delay_alu instid0(VALU_DEP_2)
	v_add_co_ci_u32_e64 v5, null, v5, v7, vcc_lo
	flat_store_b128 v[4:5], v[0:3]
	s_clause 0x4
	flat_load_b32 v7, v[66:67] offset:776
	flat_load_b32 v8, v[66:67] offset:764
	flat_load_b32 v11, v[66:67] offset:744
	flat_load_b128 v[0:3], v[66:67] offset:748
	flat_load_b96 v[4:6], v[66:67] offset:728
	s_wait_loadcnt_dscnt 0x404
	v_add_nc_u32_e32 v10, 1, v7
	s_wait_loadcnt_dscnt 0x101
	v_sub_nc_u32_e32 v12, v0, v3
	s_delay_alu instid0(VALU_DEP_2) | instskip(NEXT) | instid1(VALU_DEP_1)
	v_sub_nc_u32_e32 v1, v10, v8
	v_add_nc_u32_e32 v11, v11, v1
	s_delay_alu instid0(VALU_DEP_1) | instskip(SKIP_3) | instid1(VALU_DEP_3)
	v_ashrrev_i32_e32 v1, 31, v11
	s_wait_loadcnt_dscnt 0x0
	v_sub_nc_u32_e32 v6, v11, v6
	v_mov_b32_e32 v8, v11
	v_lshrrev_b32_e32 v1, 29, v1
	s_delay_alu instid0(VALU_DEP_3) | instskip(NEXT) | instid1(VALU_DEP_2)
	;; [unrolled: 45-line block ×6, first 2 shown]
	v_lshlrev_b32_e32 v6, 7, v6
	v_add_nc_u32_e32 v1, v11, v1
	s_delay_alu instid0(VALU_DEP_1) | instskip(NEXT) | instid1(VALU_DEP_1)
	v_and_b32_e32 v1, -8, v1
	v_sub_nc_u32_e32 v0, v11, v1
	s_delay_alu instid0(VALU_DEP_1) | instskip(SKIP_2) | instid1(VALU_DEP_1)
	v_xor_b32_e32 v7, v12, v0
	flat_load_b128 v[0:3], v[66:67] offset:672
	v_sub_nc_u32_e32 v5, v7, v5
	v_lshlrev_b32_e32 v5, 4, v5
	s_delay_alu instid0(VALU_DEP_1)
	v_add3_u32 v6, v6, v5, v4
	s_clause 0x3
	flat_store_b32 v[66:67], v10 offset:776
	flat_store_b64 v[66:67], v[9:10] offset:760
	flat_store_b64 v[66:67], v[11:12] offset:744
	flat_store_b96 v[66:67], v[6:8] offset:728
	flat_load_b64 v[4:5], v[54:55]
	v_ashrrev_i32_e32 v7, 31, v6
	s_wait_loadcnt_dscnt 0x0
	v_add_co_u32 v4, vcc_lo, v4, v6
	s_wait_alu 0xfffd
	s_delay_alu instid0(VALU_DEP_2)
	v_add_co_ci_u32_e64 v5, null, v5, v7, vcc_lo
	flat_store_b128 v[4:5], v[0:3]
	s_clause 0x4
	flat_load_b32 v8, v[66:67] offset:776
	flat_load_b64 v[4:5], v[66:67] offset:760
	flat_load_b64 v[6:7], v[66:67] offset:744
	;; [unrolled: 1-line block ×3, first 2 shown]
	flat_load_b128 v[0:3], v[66:67] offset:716
	s_wait_loadcnt_dscnt 0x404
	v_add_nc_u32_e32 v10, -7, v8
	s_wait_loadcnt_dscnt 0x202
	v_sub_nc_u32_e32 v7, v7, v4
	s_delay_alu instid0(VALU_DEP_2) | instskip(NEXT) | instid1(VALU_DEP_1)
	v_sub_nc_u32_e32 v5, v10, v5
	v_add_nc_u32_e32 v6, v6, v5
	s_delay_alu instid0(VALU_DEP_1) | instskip(NEXT) | instid1(VALU_DEP_1)
	v_ashrrev_i32_e32 v5, 31, v6
	v_lshrrev_b32_e32 v5, 29, v5
	s_delay_alu instid0(VALU_DEP_1) | instskip(NEXT) | instid1(VALU_DEP_1)
	v_add_nc_u32_e32 v5, v6, v5
	v_and_b32_e32 v5, -8, v5
	s_delay_alu instid0(VALU_DEP_1) | instskip(SKIP_2) | instid1(VALU_DEP_2)
	v_sub_nc_u32_e32 v4, v6, v5
	s_wait_loadcnt_dscnt 0x101
	v_sub_nc_u32_e32 v5, v6, v12
	v_xor_b32_e32 v4, v7, v4
	s_delay_alu instid0(VALU_DEP_2) | instskip(SKIP_1) | instid1(VALU_DEP_3)
	v_lshlrev_b32_e32 v13, 7, v5
	v_mov_b32_e32 v5, v6
	v_sub_nc_u32_e32 v8, v4, v11
	flat_load_b64 v[11:12], v[66:67] offset:704
	v_lshlrev_b32_e32 v8, 4, v8
	s_wait_loadcnt_dscnt 0x101
	s_delay_alu instid0(VALU_DEP_1)
	v_add3_u32 v3, v13, v8, v3
	v_mov_b32_e32 v13, 1
	s_clause 0x4
	flat_store_b32 v[66:67], v10 offset:776
	flat_store_b64 v[66:67], v[9:10] offset:760
	flat_store_b64 v[66:67], v[6:7] offset:744
	flat_store_b96 v[66:67], v[3:5] offset:728
	flat_store_b8 v[66:67], v13 offset:288
	flat_load_b128 v[3:6], v[86:87]
	s_wait_loadcnt_dscnt 0x0
	v_mov_b32_e32 v6, 0x31004000
	v_and_b32_e32 v4, 0xffff, v4
.LBB8_41:                               ; =>This Inner Loop Header: Depth=1
	v_readfirstlane_b32 s4, v3
	s_delay_alu instid0(VALU_DEP_2) | instskip(SKIP_3) | instid1(VALU_DEP_3)
	v_readfirstlane_b32 s5, v4
	v_readfirstlane_b32 s6, v5
	v_readfirstlane_b32 s7, v6
	s_wait_alu 0xf1ff
	v_cmp_eq_u64_e32 vcc_lo, s[4:5], v[3:4]
	s_delay_alu instid0(VALU_DEP_2)
	v_cmp_eq_u64_e64 s0, s[6:7], v[5:6]
	s_and_b32 s0, vcc_lo, s0
	s_wait_alu 0xfffe
	s_and_saveexec_b32 s0, s0
	s_wait_loadcnt 0x0
	buffer_load_b128 v[7:10], v11, s[4:7], null offen
                                        ; implicit-def: $vgpr3_vgpr4_vgpr5_vgpr6
	s_xor_b32 exec_lo, exec_lo, s0
	s_cbranch_execnz .LBB8_41
; %bb.42:
	s_mov_b32 exec_lo, s1
	v_add_nc_u32_e32 v3, 1, v2
	v_add_nc_u32_e32 v4, 1, v12
	s_mov_b32 s1, exec_lo
	s_wait_loadcnt 0x0
	s_clause 0x2
	flat_store_b128 v[66:67], v[7:10]
	flat_store_b32 v[66:67], v3 offset:724
	flat_store_b32 v[66:67], v4 offset:708
	flat_load_b32 v3, v[96:97] offset:8
	s_wait_loadcnt_dscnt 0x0
	v_add_nc_u32_e32 v11, v3, v11
	s_clause 0x1
	flat_store_b32 v[66:67], v11 offset:704
	flat_store_b8 v[66:67], v13 offset:304
	flat_load_b128 v[3:6], v[86:87]
	s_wait_loadcnt_dscnt 0x0
	v_mov_b32_e32 v6, 0x31004000
	v_and_b32_e32 v4, 0xffff, v4
.LBB8_43:                               ; =>This Inner Loop Header: Depth=1
	v_readfirstlane_b32 s4, v3
	s_delay_alu instid0(VALU_DEP_2) | instskip(SKIP_3) | instid1(VALU_DEP_3)
	v_readfirstlane_b32 s5, v4
	v_readfirstlane_b32 s6, v5
	v_readfirstlane_b32 s7, v6
	s_wait_alu 0xf1ff
	v_cmp_eq_u64_e32 vcc_lo, s[4:5], v[3:4]
	s_delay_alu instid0(VALU_DEP_2)
	v_cmp_eq_u64_e64 s0, s[6:7], v[5:6]
	s_and_b32 s0, vcc_lo, s0
	s_wait_alu 0xfffe
	s_and_saveexec_b32 s0, s0
	s_wait_loadcnt 0x0
	buffer_load_b128 v[7:10], v11, s[4:7], null offen
                                        ; implicit-def: $vgpr3_vgpr4_vgpr5_vgpr6
	s_xor_b32 exec_lo, exec_lo, s0
	s_cbranch_execnz .LBB8_43
; %bb.44:
	s_mov_b32 exec_lo, s1
	v_add_nc_u32_e32 v3, 2, v2
	v_add_nc_u32_e32 v4, 2, v12
	s_mov_b32 s1, exec_lo
	s_wait_loadcnt 0x0
	s_clause 0x2
	flat_store_b128 v[66:67], v[7:10] offset:16
	flat_store_b32 v[66:67], v3 offset:724
	flat_store_b32 v[66:67], v4 offset:708
	flat_load_b32 v3, v[96:97] offset:8
	s_wait_loadcnt_dscnt 0x0
	v_add_nc_u32_e32 v11, v3, v11
	s_clause 0x1
	flat_store_b32 v[66:67], v11 offset:704
	flat_store_b8 v[66:67], v13 offset:320
	flat_load_b128 v[3:6], v[86:87]
	s_wait_loadcnt_dscnt 0x0
	v_mov_b32_e32 v6, 0x31004000
	v_and_b32_e32 v4, 0xffff, v4
.LBB8_45:                               ; =>This Inner Loop Header: Depth=1
	v_readfirstlane_b32 s4, v3
	s_delay_alu instid0(VALU_DEP_2) | instskip(SKIP_3) | instid1(VALU_DEP_3)
	v_readfirstlane_b32 s5, v4
	v_readfirstlane_b32 s6, v5
	v_readfirstlane_b32 s7, v6
	s_wait_alu 0xf1ff
	v_cmp_eq_u64_e32 vcc_lo, s[4:5], v[3:4]
	s_delay_alu instid0(VALU_DEP_2)
	v_cmp_eq_u64_e64 s0, s[6:7], v[5:6]
	s_and_b32 s0, vcc_lo, s0
	s_wait_alu 0xfffe
	s_and_saveexec_b32 s0, s0
	s_wait_loadcnt 0x0
	buffer_load_b128 v[7:10], v11, s[4:7], null offen
                                        ; implicit-def: $vgpr3_vgpr4_vgpr5_vgpr6
	s_xor_b32 exec_lo, exec_lo, s0
	s_cbranch_execnz .LBB8_45
; %bb.46:
	s_mov_b32 exec_lo, s1
	v_add_nc_u32_e32 v3, 3, v2
	v_add_nc_u32_e32 v4, 3, v12
	s_mov_b32 s1, exec_lo
	s_wait_loadcnt 0x0
	s_clause 0x2
	flat_store_b128 v[66:67], v[7:10] offset:32
	;; [unrolled: 38-line block ×6, first 2 shown]
	flat_store_b32 v[66:67], v3 offset:724
	flat_store_b32 v[66:67], v4 offset:708
	flat_load_b32 v3, v[96:97] offset:8
	s_wait_loadcnt_dscnt 0x0
	v_add_nc_u32_e32 v11, v3, v11
	flat_store_b32 v[66:67], v11 offset:704
	flat_load_b128 v[3:6], v[86:87]
	s_wait_loadcnt_dscnt 0x0
	v_mov_b32_e32 v6, 0x31004000
	flat_store_b8 v[66:67], v13 offset:400
	v_and_b32_e32 v4, 0xffff, v4
.LBB8_55:                               ; =>This Inner Loop Header: Depth=1
	v_readfirstlane_b32 s4, v3
	s_delay_alu instid0(VALU_DEP_2) | instskip(SKIP_3) | instid1(VALU_DEP_3)
	v_readfirstlane_b32 s5, v4
	v_readfirstlane_b32 s6, v5
	;; [unrolled: 1-line block ×3, first 2 shown]
	s_wait_alu 0xf1ff
	v_cmp_eq_u64_e32 vcc_lo, s[4:5], v[3:4]
	s_delay_alu instid0(VALU_DEP_2)
	v_cmp_eq_u64_e64 s0, s[6:7], v[5:6]
	s_and_b32 s0, vcc_lo, s0
	s_wait_alu 0xfffe
	s_and_saveexec_b32 s0, s0
	s_wait_loadcnt 0x0
	buffer_load_b128 v[7:10], v11, s[4:7], null offen
                                        ; implicit-def: $vgpr3_vgpr4_vgpr5_vgpr6
	s_xor_b32 exec_lo, exec_lo, s0
	s_cbranch_execnz .LBB8_55
; %bb.56:
	s_mov_b32 exec_lo, s1
	s_wait_loadcnt 0x0
	flat_store_b128 v[66:67], v[7:10] offset:112
	flat_load_b96 v[3:5], v[84:85]
	s_mov_b32 s0, exec_lo
	s_wait_loadcnt_dscnt 0x0
	v_add_nc_u32_e32 v6, -7, v4
	v_add_nc_u32_e32 v0, v0, v3
	v_add_nc_u32_e32 v2, v4, v2
	;; [unrolled: 1-line block ×3, first 2 shown]
	flat_store_b96 v[66:67], v[0:2] offset:716
	v_cmpx_ne_u32_e32 0, v6
	s_cbranch_execz .LBB8_58
; %bb.57:
	v_add_nc_u32_e32 v0, v12, v4
	flat_store_b32 v[66:67], v0 offset:708
.LBB8_58:
	s_wait_alu 0xfffe
	s_or_b32 exec_lo, exec_lo, s0
	v_or_b32_e32 v2, v5, v3
	v_mov_b32_e32 v0, 0
	s_mov_b32 s0, exec_lo
	s_delay_alu instid0(VALU_DEP_2)
	v_cmpx_ne_u32_e32 0, v2
	s_cbranch_execz .LBB8_60
; %bb.59:
	flat_load_b32 v1, v[96:97] offset:24
	flat_load_b32 v4, v[66:67] offset:712
	v_mov_b32_e32 v0, v5
	s_wait_loadcnt_dscnt 0x101
	s_delay_alu instid0(VALU_DEP_1) | instskip(SKIP_1) | instid1(VALU_DEP_1)
	v_mad_co_u64_u32 v[0:1], null, v1, v3, v[0:1]
	s_wait_loadcnt_dscnt 0x0
	v_add_nc_u32_e32 v1, v0, v4
	flat_store_b32 v[66:67], v1 offset:712
.LBB8_60:
	s_wait_alu 0xfffe
	s_or_b32 exec_lo, exec_lo, s0
	v_or_b32_e32 v1, v2, v6
	s_mov_b32 s4, 0
	s_mov_b32 s0, exec_lo
	s_delay_alu instid0(VALU_DEP_1)
	v_cmpx_ne_u32_e32 0, v1
	s_cbranch_execz .LBB8_62
; %bb.61:
	flat_load_b32 v1, v[96:97] offset:8
	s_wait_loadcnt_dscnt 0x0
	v_mul_lo_u32 v1, v1, v6
	s_delay_alu instid0(VALU_DEP_1)
	v_add3_u32 v0, v11, v0, v1
	flat_store_b32 v[66:67], v0 offset:704
.LBB8_62:
	s_wait_alu 0xfffe
	s_or_b32 exec_lo, exec_lo, s0
	s_wait_dscnt 0x0
	s_barrier_signal -1
	s_barrier_wait -1
	s_clause 0x3
	flat_load_b96 v[4:6], v[64:65] offset:1132
	flat_load_b64 v[7:8], v[64:65] offset:1148
	flat_load_b64 v[9:10], v[64:65] offset:1184
	flat_load_b32 v13, v[64:65] offset:1176
	scratch_load_b128 v[0:3], off, s33
	flat_load_b64 v[11:12], v[54:55]
	s_mov_b32 s5, s4
	s_mov_b32 s6, s4
	;; [unrolled: 1-line block ×3, first 2 shown]
	s_mov_b64 s[12:13], src_private_base
	s_wait_loadcnt_dscnt 0x504
	v_ashrrev_i32_e32 v14, 31, v4
	s_wait_loadcnt_dscnt 0x403
	v_sub_nc_u32_e32 v6, v7, v6
	s_wait_loadcnt_dscnt 0x302
	v_add_nc_u32_e32 v15, 16, v10
	v_add_nc_u32_e32 v16, 64, v10
	;; [unrolled: 1-line block ×3, first 2 shown]
	s_wait_loadcnt_dscnt 0x201
	v_sub_nc_u32_e32 v8, v8, v13
	v_ashrrev_i32_e32 v13, 31, v7
	v_ashrrev_i32_e32 v49, 31, v15
	;; [unrolled: 1-line block ×4, first 2 shown]
	v_lshl_add_u32 v6, v6, 7, v4
	v_lshrrev_b32_e32 v13, 29, v13
	v_lshrrev_b32_e32 v49, 28, v49
	;; [unrolled: 1-line block ×4, first 2 shown]
	v_sub_nc_u32_e32 v6, v6, v9
	v_add_nc_u32_e32 v13, v7, v13
	v_add_nc_u32_e32 v49, v15, v49
	;; [unrolled: 1-line block ×4, first 2 shown]
	s_wait_loadcnt_dscnt 0x0
	v_add_co_u32 v4, vcc_lo, v11, v4
	v_and_b32_e32 v13, -8, v13
	v_lshrrev_b32_e32 v98, 4, v49
	v_lshrrev_b32_e32 v99, 4, v50
	;; [unrolled: 1-line block ×3, first 2 shown]
	v_and_b32_e32 v49, -16, v49
	v_sub_nc_u32_e32 v7, v7, v13
	v_add_nc_u32_e32 v9, v98, v8
	v_add_nc_u32_e32 v13, v99, v8
	;; [unrolled: 1-line block ×3, first 2 shown]
	v_and_b32_e32 v50, -16, v50
	v_sub_nc_u32_e32 v15, v15, v49
	v_xor_b32_e32 v9, v9, v7
	v_xor_b32_e32 v13, v13, v7
	;; [unrolled: 1-line block ×3, first 2 shown]
	v_and_b32_e32 v8, -16, v51
	v_ashrrev_i32_e32 v17, 16, v0
	v_sub_nc_u32_e32 v9, v9, v5
	v_sub_nc_u32_e32 v13, v13, v5
	;; [unrolled: 1-line block ×5, first 2 shown]
	v_lshlrev_b32_e32 v9, 4, v9
	v_lshlrev_b32_e32 v10, 4, v13
	;; [unrolled: 1-line block ×3, first 2 shown]
	v_ashrrev_i32_e32 v18, 8, v0
	v_ashrrev_i32_e32 v19, 24, v0
	v_add3_u32 v9, v15, v6, v9
	v_add3_u32 v10, v7, v6, v10
	v_add3_u32 v15, v8, v6, v5
	s_wait_alu 0xfffd
	v_add_co_ci_u32_e64 v5, null, v12, v14, vcc_lo
	v_ashrrev_i32_e32 v7, 31, v9
	v_ashrrev_i32_e32 v14, 31, v10
	v_add_co_u32 v6, vcc_lo, v11, v9
	v_ashrrev_i32_e32 v49, 31, v15
	s_wait_alu 0xfffd
	v_add_co_ci_u32_e64 v7, null, v12, v7, vcc_lo
	v_add_co_u32 v8, vcc_lo, v11, v10
	s_wait_alu 0xfffd
	v_add_co_ci_u32_e64 v9, null, v12, v14, vcc_lo
	v_add_co_u32 v10, vcc_lo, v11, v15
	s_wait_alu 0xfffd
	v_add_co_ci_u32_e64 v11, null, v12, v49, vcc_lo
	v_ashrrev_i32_e32 v20, 4, v0
	v_ashrrev_i32_e32 v21, 20, v0
	;; [unrolled: 1-line block ×25, first 2 shown]
	s_clause 0x3
	flat_load_b128 v[116:119], v[4:5]
	flat_load_b128 v[128:131], v[6:7]
	;; [unrolled: 1-line block ×4, first 2 shown]
	;;#ASMSTART
	v_cvt_off_f32_i4 v14, v0
	;;#ASMEND
	;;#ASMSTART
	v_cvt_off_f32_i4 v15, v17
	;;#ASMEND
	;; [unrolled: 3-line block ×32, first 2 shown]
	scratch_load_b128 v[0:3], off, s33 offset:64
	v_dual_mov_b32 v4, 0 :: v_dual_mov_b32 v5, 0
	v_dual_mov_b32 v6, 0 :: v_dual_mov_b32 v7, 0
	;; [unrolled: 1-line block ×4, first 2 shown]
	s_delay_alu instid0(VALU_DEP_4)
	v_cvt_pk_fp8_f32 v4, v14, v15
	v_cvt_pk_fp8_f32 v5, v17, v18
	;; [unrolled: 1-line block ×8, first 2 shown]
	v_cvt_pk_fp8_f32 v4, v19, v20 op_sel:[0,0,1]
	v_cvt_pk_fp8_f32 v5, v21, v23 op_sel:[0,0,1]
	;; [unrolled: 1-line block ×8, first 2 shown]
	s_clause 0x1
	scratch_store_b128 off, v[4:7], s33 offset:512
	scratch_store_b128 off, v[8:11], s33 offset:528
	s_wait_loadcnt 0x0
	;;#ASMSTART
	v_cvt_off_f32_i4 v12, v0
	;;#ASMEND
	v_ashrrev_i32_e32 v4, 16, v0
	v_ashrrev_i32_e32 v5, 8, v0
	v_ashrrev_i32_e32 v6, 24, v0
	v_ashrrev_i32_e32 v7, 4, v0
	v_ashrrev_i32_e32 v8, 20, v0
	v_ashrrev_i32_e32 v9, 12, v0
	v_ashrrev_i32_e32 v0, 28, v0
	v_ashrrev_i32_e32 v13, 24, v1
	v_ashrrev_i32_e32 v14, 4, v1
	v_ashrrev_i32_e32 v15, 20, v1
	v_ashrrev_i32_e32 v16, 12, v1
	v_ashrrev_i32_e32 v17, 28, v1
	v_ashrrev_i32_e32 v18, 16, v2
	v_ashrrev_i32_e32 v19, 8, v2
	v_ashrrev_i32_e32 v20, 24, v2
	v_ashrrev_i32_e32 v21, 4, v2
	v_ashrrev_i32_e32 v23, 20, v2
	v_ashrrev_i32_e32 v24, 12, v2
	v_ashrrev_i32_e32 v25, 28, v2
	v_ashrrev_i32_e32 v26, 16, v3
	v_ashrrev_i32_e32 v27, 8, v3
	v_ashrrev_i32_e32 v28, 24, v3
	v_ashrrev_i32_e32 v29, 4, v3
	v_ashrrev_i32_e32 v30, 20, v3
	v_ashrrev_i32_e32 v31, 12, v3
	v_ashrrev_i32_e32 v32, 28, v3
	v_ashrrev_i32_e32 v10, 16, v1
	v_ashrrev_i32_e32 v11, 8, v1
	;;#ASMSTART
	v_cvt_off_f32_i4 v33, v4
	;;#ASMEND
	;;#ASMSTART
	v_cvt_off_f32_i4 v34, v5
	;;#ASMEND
	;; [unrolled: 3-line block ×31, first 2 shown]
	scratch_load_b128 v[0:3], off, s33 offset:128
	v_dual_mov_b32 v4, 0 :: v_dual_mov_b32 v5, 0
	v_dual_mov_b32 v6, 0 :: v_dual_mov_b32 v7, 0
	;; [unrolled: 1-line block ×4, first 2 shown]
	s_delay_alu instid0(VALU_DEP_4)
	v_cvt_pk_fp8_f32 v4, v12, v33
	v_cvt_pk_fp8_f32 v5, v34, v35
	v_cvt_pk_fp8_f32 v6, v48, v49
	v_cvt_pk_fp8_f32 v7, v50, v13
	v_cvt_pk_fp8_f32 v8, v51, v18
	v_cvt_pk_fp8_f32 v9, v19, v20
	v_cvt_pk_fp8_f32 v10, v102, v26
	v_cvt_pk_fp8_f32 v11, v27, v28
	v_cvt_pk_fp8_f32 v4, v36, v37 op_sel:[0,0,1]
	v_cvt_pk_fp8_f32 v5, v38, v39 op_sel:[0,0,1]
	;; [unrolled: 1-line block ×8, first 2 shown]
	s_clause 0x1
	scratch_store_b128 off, v[4:7], s33 offset:576
	scratch_store_b128 off, v[8:11], s33 offset:592
	s_wait_loadcnt 0x0
	;;#ASMSTART
	v_cvt_off_f32_i4 v12, v0
	;;#ASMEND
	v_ashrrev_i32_e32 v4, 16, v0
	v_ashrrev_i32_e32 v5, 8, v0
	;; [unrolled: 1-line block ×28, first 2 shown]
	;;#ASMSTART
	v_cvt_off_f32_i4 v33, v4
	;;#ASMEND
	;;#ASMSTART
	v_cvt_off_f32_i4 v34, v5
	;;#ASMEND
	;; [unrolled: 3-line block ×31, first 2 shown]
	scratch_load_b128 v[0:3], off, s33 offset:192
	v_dual_mov_b32 v4, 0 :: v_dual_mov_b32 v5, 0
	v_mov_b32_e32 v10, 0
	v_dual_mov_b32 v6, 0 :: v_dual_mov_b32 v7, 0
	v_dual_mov_b32 v8, 0 :: v_dual_mov_b32 v9, 0
	v_mov_b32_e32 v11, 0
	v_cvt_pk_fp8_f32 v4, v12, v33
	v_cvt_pk_fp8_f32 v5, v34, v35
	;; [unrolled: 1-line block ×8, first 2 shown]
	v_cvt_pk_fp8_f32 v4, v36, v37 op_sel:[0,0,1]
	v_cvt_pk_fp8_f32 v5, v38, v39 op_sel:[0,0,1]
	;; [unrolled: 1-line block ×8, first 2 shown]
	s_clause 0x1
	scratch_store_b128 off, v[4:7], s33 offset:640
	scratch_store_b128 off, v[8:11], s33 offset:656
	s_wait_loadcnt 0x0
	;;#ASMSTART
	v_cvt_off_f32_i4 v12, v0
	;;#ASMEND
	v_ashrrev_i32_e32 v4, 16, v0
	v_ashrrev_i32_e32 v5, 8, v0
	;; [unrolled: 1-line block ×28, first 2 shown]
	;;#ASMSTART
	v_cvt_off_f32_i4 v33, v4
	;;#ASMEND
	;;#ASMSTART
	v_cvt_off_f32_i4 v34, v5
	;;#ASMEND
	;; [unrolled: 3-line block ×31, first 2 shown]
	scratch_load_b128 v[0:3], off, s33 offset:224
	v_dual_mov_b32 v4, 0 :: v_dual_mov_b32 v5, 0
	v_mov_b32_e32 v10, 0
	v_dual_mov_b32 v6, 0 :: v_dual_mov_b32 v7, 0
	v_dual_mov_b32 v8, 0 :: v_dual_mov_b32 v9, 0
	v_mov_b32_e32 v11, 0
	v_cvt_pk_fp8_f32 v4, v12, v33
	v_cvt_pk_fp8_f32 v5, v34, v35
	;; [unrolled: 1-line block ×8, first 2 shown]
	v_cvt_pk_fp8_f32 v4, v36, v37 op_sel:[0,0,1]
	v_cvt_pk_fp8_f32 v5, v38, v39 op_sel:[0,0,1]
	;; [unrolled: 1-line block ×8, first 2 shown]
	s_clause 0x1
	scratch_store_b128 off, v[4:7], s33 offset:704
	scratch_store_b128 off, v[8:11], s33 offset:720
	s_wait_loadcnt 0x0
	;;#ASMSTART
	v_cvt_off_f32_i4 v12, v0
	;;#ASMEND
	v_ashrrev_i32_e32 v4, 16, v0
	v_ashrrev_i32_e32 v5, 8, v0
	;; [unrolled: 1-line block ×28, first 2 shown]
	;;#ASMSTART
	v_cvt_off_f32_i4 v33, v4
	;;#ASMEND
	;;#ASMSTART
	v_cvt_off_f32_i4 v34, v5
	;;#ASMEND
	;; [unrolled: 3-line block ×31, first 2 shown]
	scratch_load_b128 v[0:3], off, s33 offset:160
	v_dual_mov_b32 v4, 0 :: v_dual_mov_b32 v5, 0
	v_mov_b32_e32 v10, 0
	v_dual_mov_b32 v6, 0 :: v_dual_mov_b32 v7, 0
	v_dual_mov_b32 v8, 0 :: v_dual_mov_b32 v9, 0
	v_mov_b32_e32 v11, 0
	v_cvt_pk_fp8_f32 v4, v12, v33
	v_cvt_pk_fp8_f32 v5, v34, v35
	;; [unrolled: 1-line block ×8, first 2 shown]
	v_cvt_pk_fp8_f32 v4, v36, v37 op_sel:[0,0,1]
	v_cvt_pk_fp8_f32 v5, v38, v39 op_sel:[0,0,1]
	;; [unrolled: 1-line block ×8, first 2 shown]
	s_clause 0x1
	scratch_store_b128 off, v[4:7], s33 offset:736
	scratch_store_b128 off, v[8:11], s33 offset:752
	s_wait_loadcnt 0x0
	;;#ASMSTART
	v_cvt_off_f32_i4 v12, v0
	;;#ASMEND
	v_ashrrev_i32_e32 v4, 16, v0
	v_ashrrev_i32_e32 v5, 8, v0
	v_ashrrev_i32_e32 v6, 24, v0
	v_ashrrev_i32_e32 v7, 4, v0
	v_ashrrev_i32_e32 v8, 20, v0
	v_ashrrev_i32_e32 v9, 12, v0
	v_ashrrev_i32_e32 v0, 28, v0
	v_ashrrev_i32_e32 v13, 24, v1
	v_ashrrev_i32_e32 v14, 4, v1
	v_ashrrev_i32_e32 v15, 20, v1
	v_ashrrev_i32_e32 v16, 12, v1
	v_ashrrev_i32_e32 v17, 28, v1
	v_ashrrev_i32_e32 v18, 16, v2
	v_ashrrev_i32_e32 v19, 8, v2
	v_ashrrev_i32_e32 v20, 24, v2
	v_ashrrev_i32_e32 v21, 4, v2
	v_ashrrev_i32_e32 v23, 20, v2
	v_ashrrev_i32_e32 v24, 12, v2
	v_ashrrev_i32_e32 v25, 28, v2
	v_ashrrev_i32_e32 v26, 16, v3
	v_ashrrev_i32_e32 v27, 8, v3
	v_ashrrev_i32_e32 v28, 24, v3
	v_ashrrev_i32_e32 v29, 4, v3
	v_ashrrev_i32_e32 v30, 20, v3
	v_ashrrev_i32_e32 v31, 12, v3
	v_ashrrev_i32_e32 v32, 28, v3
	v_ashrrev_i32_e32 v10, 16, v1
	v_ashrrev_i32_e32 v11, 8, v1
	;;#ASMSTART
	v_cvt_off_f32_i4 v33, v4
	;;#ASMEND
	;;#ASMSTART
	v_cvt_off_f32_i4 v34, v5
	;;#ASMEND
	;; [unrolled: 3-line block ×31, first 2 shown]
	scratch_load_b128 v[0:3], off, s33 offset:96
	v_dual_mov_b32 v4, 0 :: v_dual_mov_b32 v5, 0
	v_mov_b32_e32 v10, 0
	v_dual_mov_b32 v6, 0 :: v_dual_mov_b32 v7, 0
	v_dual_mov_b32 v8, 0 :: v_dual_mov_b32 v9, 0
	v_mov_b32_e32 v11, 0
	v_cvt_pk_fp8_f32 v4, v12, v33
	v_cvt_pk_fp8_f32 v5, v34, v35
	;; [unrolled: 1-line block ×4, first 2 shown]
	v_mov_b32_e32 v102, 0
	v_cvt_pk_fp8_f32 v7, v50, v13
	v_cvt_pk_fp8_f32 v8, v51, v18
	;; [unrolled: 1-line block ×4, first 2 shown]
	v_cvt_pk_fp8_f32 v4, v36, v37 op_sel:[0,0,1]
	v_cvt_pk_fp8_f32 v5, v38, v39 op_sel:[0,0,1]
	;; [unrolled: 1-line block ×8, first 2 shown]
	s_clause 0x1
	scratch_store_b128 off, v[4:7], s33 offset:672
	scratch_store_b128 off, v[8:11], s33 offset:688
	s_wait_loadcnt 0x0
	;;#ASMSTART
	v_cvt_off_f32_i4 v19, v0
	;;#ASMEND
	v_ashrrev_i32_e32 v4, 16, v0
	v_ashrrev_i32_e32 v5, 8, v0
	;; [unrolled: 1-line block ×28, first 2 shown]
	;;#ASMSTART
	v_cvt_off_f32_i4 v33, v4
	;;#ASMEND
	;;#ASMSTART
	v_cvt_off_f32_i4 v34, v5
	;;#ASMEND
	;;#ASMSTART
	v_cvt_off_f32_i4 v35, v6
	;;#ASMEND
	;;#ASMSTART
	v_cvt_off_f32_i4 v36, v7
	;;#ASMEND
	;;#ASMSTART
	v_cvt_off_f32_i4 v37, v8
	;;#ASMEND
	;;#ASMSTART
	v_cvt_off_f32_i4 v38, v9
	;;#ASMEND
	;;#ASMSTART
	v_cvt_off_f32_i4 v39, v0
	;;#ASMEND
	;;#ASMSTART
	v_cvt_off_f32_i4 v48, v1
	;;#ASMEND
	;;#ASMSTART
	v_cvt_off_f32_i4 v49, v10
	;;#ASMEND
	;;#ASMSTART
	v_cvt_off_f32_i4 v50, v11
	;;#ASMEND
	;;#ASMSTART
	v_cvt_off_f32_i4 v51, v12
	;;#ASMEND
	;;#ASMSTART
	v_cvt_off_f32_i4 v103, v13
	;;#ASMEND
	;;#ASMSTART
	v_cvt_off_f32_i4 v132, v14
	;;#ASMEND
	;;#ASMSTART
	v_cvt_off_f32_i4 v133, v15
	;;#ASMEND
	;;#ASMSTART
	v_cvt_off_f32_i4 v134, v16
	;;#ASMEND
	;;#ASMSTART
	v_cvt_off_f32_i4 v135, v2
	;;#ASMEND
	;;#ASMSTART
	v_cvt_off_f32_i4 v144, v17
	;;#ASMEND
	;;#ASMSTART
	v_cvt_off_f32_i4 v145, v18
	;;#ASMEND
	;;#ASMSTART
	v_cvt_off_f32_i4 v20, v20
	;;#ASMEND
	;;#ASMSTART
	v_cvt_off_f32_i4 v21, v21
	;;#ASMEND
	;;#ASMSTART
	v_cvt_off_f32_i4 v23, v23
	;;#ASMEND
	;;#ASMSTART
	v_cvt_off_f32_i4 v24, v24
	;;#ASMEND
	;;#ASMSTART
	v_cvt_off_f32_i4 v25, v25
	;;#ASMEND
	;;#ASMSTART
	v_cvt_off_f32_i4 v146, v3
	;;#ASMEND
	;;#ASMSTART
	v_cvt_off_f32_i4 v26, v26
	;;#ASMEND
	;;#ASMSTART
	v_cvt_off_f32_i4 v27, v27
	;;#ASMEND
	;;#ASMSTART
	v_cvt_off_f32_i4 v28, v28
	;;#ASMEND
	;;#ASMSTART
	v_cvt_off_f32_i4 v29, v29
	;;#ASMEND
	;;#ASMSTART
	v_cvt_off_f32_i4 v30, v30
	;;#ASMEND
	;;#ASMSTART
	v_cvt_off_f32_i4 v31, v31
	;;#ASMEND
	;;#ASMSTART
	v_cvt_off_f32_i4 v32, v32
	;;#ASMEND
	scratch_load_b128 v[0:3], off, s33 offset:32
	v_dual_mov_b32 v4, 0 :: v_dual_mov_b32 v5, 0
	v_mov_b32_e32 v8, 0
	v_dual_mov_b32 v6, 0 :: v_dual_mov_b32 v7, 0
	v_dual_mov_b32 v10, 0 :: v_dual_mov_b32 v9, 0
	;; [unrolled: 1-line block ×3, first 2 shown]
	v_mov_b32_e32 v14, 0
	v_cvt_pk_fp8_f32 v4, v19, v33
	v_cvt_pk_fp8_f32 v5, v34, v35
	;; [unrolled: 1-line block ×8, first 2 shown]
	v_cvt_pk_fp8_f32 v4, v36, v37 op_sel:[0,0,1]
	v_cvt_pk_fp8_f32 v5, v38, v39 op_sel:[0,0,1]
	;; [unrolled: 1-line block ×4, first 2 shown]
	v_dual_mov_b32 v13, 0 :: v_dual_mov_b32 v16, 0
	v_dual_mov_b32 v15, 0 :: v_dual_mov_b32 v18, 0
	v_cvt_pk_fp8_f32 v8, v21, v23 op_sel:[0,0,1]
	v_cvt_pk_fp8_f32 v9, v24, v25 op_sel:[0,0,1]
	;; [unrolled: 1-line block ×4, first 2 shown]
	s_wait_alu 0xfffe
	v_dual_mov_b32 v17, 0 :: v_dual_mov_b32 v26, s7
	v_dual_mov_b32 v19, 0 :: v_dual_mov_b32 v24, s5
	s_clause 0x1
	scratch_store_b128 off, v[4:7], s33 offset:608
	scratch_store_b128 off, v[8:11], s33 offset:624
	s_wait_loadcnt 0x0
	;;#ASMSTART
	v_cvt_off_f32_i4 v4, v0
	;;#ASMEND
	v_mov_b32_e32 v25, s6
	v_mov_b32_e32 v23, s4
	v_ashrrev_i32_e32 v5, 16, v0
	v_ashrrev_i32_e32 v6, 8, v0
	;; [unrolled: 1-line block ×24, first 2 shown]
	;;#ASMSTART
	v_cvt_off_f32_i4 v5, v5
	;;#ASMEND
	;;#ASMSTART
	v_cvt_off_f32_i4 v6, v6
	;;#ASMEND
	;; [unrolled: 3-line block ×11, first 2 shown]
	v_cvt_pk_fp8_f32 v12, v4, v5
	v_cvt_pk_fp8_f32 v13, v6, v7
	v_cvt_pk_fp8_f32 v14, v1, v11
	v_cvt_pk_fp8_f32 v15, v20, v21
	v_ashrrev_i32_e32 v49, 4, v3
	v_ashrrev_i32_e32 v50, 20, v3
	;; [unrolled: 1-line block ×4, first 2 shown]
	;;#ASMSTART
	v_cvt_off_f32_i4 v27, v27
	;;#ASMEND
	;;#ASMSTART
	v_cvt_off_f32_i4 v28, v28
	;;#ASMEND
	;; [unrolled: 3-line block ×16, first 2 shown]
	v_cvt_pk_fp8_f32 v16, v2, v31
	v_cvt_pk_fp8_f32 v17, v32, v33
	;; [unrolled: 1-line block ×4, first 2 shown]
	v_cvt_pk_fp8_f32 v12, v8, v9 op_sel:[0,0,1]
	v_cvt_pk_fp8_f32 v13, v10, v0 op_sel:[0,0,1]
	;; [unrolled: 1-line block ×4, first 2 shown]
	;;#ASMSTART
	v_cvt_off_f32_i4 v49, v49
	;;#ASMEND
	;;#ASMSTART
	v_cvt_off_f32_i4 v50, v50
	;;#ASMEND
	;; [unrolled: 3-line block ×4, first 2 shown]
	s_clause 0x1f
	flat_store_b128 v[52:53], v[23:26]
	flat_store_b128 v[52:53], v[23:26] offset:16
	flat_store_b128 v[52:53], v[23:26] offset:32
	;; [unrolled: 1-line block ×31, first 2 shown]
	s_clause 0x19
	flat_store_b128 v[52:53], v[23:26] offset:512
	flat_store_b128 v[52:53], v[23:26] offset:528
	;; [unrolled: 1-line block ×26, first 2 shown]
	v_cvt_pk_fp8_f32 v16, v34, v35 op_sel:[0,0,1]
	v_cvt_pk_fp8_f32 v17, v36, v37 op_sel:[0,0,1]
	;; [unrolled: 1-line block ×4, first 2 shown]
	s_clause 0x3
	flat_store_b128 v[52:53], v[23:26] offset:928
	flat_store_b128 v[52:53], v[23:26] offset:944
	;; [unrolled: 1-line block ×4, first 2 shown]
	s_clause 0x1
	scratch_store_b128 off, v[12:15], s33 offset:544
	scratch_store_b128 off, v[16:19], s33 offset:560
	s_clause 0x1
	flat_store_b128 v[52:53], v[23:26] offset:992
	flat_store_b128 v[52:53], v[23:26] offset:1008
	; sched_barrier mask(0x00000000)
	s_movk_i32 s0, 0x100
	v_dual_mov_b32 v135, 1 :: v_dual_add_nc_u32 v134, -2, v22
	v_mov_b32_e32 v133, 0x31004000
	s_wait_alu 0xfffe
	s_add_co_i32 s14, s33, s0
	s_add_co_i32 s12, s33, s0
	s_wait_alu 0xfffe
	s_addk_co_i32 s14, 0x200
	s_mov_b32 s15, s13
	s_mov_b32 s2, 0
	s_branch .LBB8_64
.LBB8_63:                               ;   in Loop: Header=BB8_64 Depth=1
	s_wait_alu 0xfffe
	s_or_b32 exec_lo, exec_lo, s0
	scratch_load_b128 v[8:11], off, s33 offset:768
	s_clause 0x1
	flat_load_b128 v[4:7], v[52:53] offset:272
	flat_load_b128 v[0:3], v[52:53] offset:256
	s_clause 0x6
	scratch_load_b128 v[12:15], off, s33 offset:784
	scratch_load_b128 v[16:19], off, s33 offset:832
	;; [unrolled: 1-line block ×7, first 2 shown]
	s_getpc_b64 s[0:1]
	s_wait_alu 0xfffe
	s_sext_i32_i16 s1, s1
	s_add_co_u32 s0, s0, _ZNK2ck44ThreadwiseTensorSliceTransfer_StaticToStaticINS_7pk_i4_tENS_9f8_fnuz_tEKNS_16TensorDescriptorINS_5TupleIJNS_7UnMergeINS4_IJNS_17integral_constantIiLi4EEENS6_IiLi1EEENS6_IiLi2EEENS6_IiLi32EEEEEELb0EEEEEENS4_IJNS_8SequenceIJLi0EEEEEEENS4_IJNSE_IJLi1ELi2ELi3ELi4EEEEEEESH_NS6_IlLl256EEEEESL_NS_16tensor_operation12element_wise11PassThroughENSE_IJLi4ELi1ELi2ELi32EEEENSE_IJLi1ELi2ELi0ELi3EEEELi3ELi32ELb0EE3RunINS4_IJNS6_IiLi0EEEST_ST_ST_EEESU_NS_12StaticBufferILNS_16AddressSpaceEnumE4ES1_Li256ELb1EEENSV_ILSW_4ES2_Li256ELb1EEEEEvRSL_RKT_RKT1_SZ_RKT0_RT2_@rel32@lo+12
	s_wait_alu 0xfffe
	s_add_co_ci_u32 s1, s1, _ZNK2ck44ThreadwiseTensorSliceTransfer_StaticToStaticINS_7pk_i4_tENS_9f8_fnuz_tEKNS_16TensorDescriptorINS_5TupleIJNS_7UnMergeINS4_IJNS_17integral_constantIiLi4EEENS6_IiLi1EEENS6_IiLi2EEENS6_IiLi32EEEEEELb0EEEEEENS4_IJNS_8SequenceIJLi0EEEEEEENS4_IJNSE_IJLi1ELi2ELi3ELi4EEEEEEESH_NS6_IlLl256EEEEESL_NS_16tensor_operation12element_wise11PassThroughENSE_IJLi4ELi1ELi2ELi32EEEENSE_IJLi1ELi2ELi0ELi3EEEELi3ELi32ELb0EE3RunINS4_IJNS6_IiLi0EEEST_ST_ST_EEESU_NS_12StaticBufferILNS_16AddressSpaceEnumE4ES1_Li256ELb1EEENSV_ILSW_4ES2_Li256ELb1EEEEEvRSL_RKT_RKT1_SZ_RKT0_RT2_@rel32@hi+24
	s_wait_loadcnt_dscnt 0x700
	v_wmma_f32_16x16x16_fp8_fp8 v[0:7], v[116:117], v[8:9], v[0:7]
	s_delay_alu instid0(VALU_DEP_1) | instskip(SKIP_3) | instid1(VALU_DEP_1)
	v_wmma_f32_16x16x16_fp8_fp8 v[0:7], v[118:119], v[10:11], v[0:7]
	flat_load_b128 v[8:11], v[52:53] offset:288
	s_wait_loadcnt 0x7
	v_wmma_f32_16x16x16_fp8_fp8 v[0:7], v[128:129], v[12:13], v[0:7]
	v_wmma_f32_16x16x16_fp8_fp8 v[0:7], v[130:131], v[14:15], v[0:7]
	flat_load_b128 v[12:15], v[52:53] offset:304
	s_wait_loadcnt_dscnt 0x0
	v_wmma_f32_16x16x16_fp8_fp8 v[8:15], v[116:117], v[16:17], v[8:15]
	s_delay_alu instid0(VALU_DEP_1) | instskip(SKIP_2) | instid1(VALU_DEP_1)
	v_wmma_f32_16x16x16_fp8_fp8 v[8:15], v[118:119], v[18:19], v[8:15]
	flat_load_b128 v[16:19], v[52:53] offset:320
	v_wmma_f32_16x16x16_fp8_fp8 v[8:15], v[128:129], v[20:21], v[8:15]
	v_wmma_f32_16x16x16_fp8_fp8 v[8:15], v[130:131], v[22:23], v[8:15]
	flat_load_b128 v[20:23], v[52:53] offset:336
	s_wait_loadcnt_dscnt 0x0
	v_wmma_f32_16x16x16_fp8_fp8 v[16:23], v[116:117], v[24:25], v[16:23]
	s_delay_alu instid0(VALU_DEP_1) | instskip(SKIP_2) | instid1(VALU_DEP_1)
	v_wmma_f32_16x16x16_fp8_fp8 v[16:23], v[118:119], v[26:27], v[16:23]
	flat_load_b128 v[24:27], v[52:53] offset:352
	v_wmma_f32_16x16x16_fp8_fp8 v[16:23], v[128:129], v[28:29], v[16:23]
	v_wmma_f32_16x16x16_fp8_fp8 v[16:23], v[130:131], v[30:31], v[16:23]
	flat_load_b128 v[28:31], v[52:53] offset:368
	s_wait_loadcnt_dscnt 0x0
	v_wmma_f32_16x16x16_fp8_fp8 v[24:31], v[116:117], v[32:33], v[24:31]
	s_delay_alu instid0(VALU_DEP_1) | instskip(SKIP_2) | instid1(VALU_DEP_1)
	v_wmma_f32_16x16x16_fp8_fp8 v[24:31], v[118:119], v[34:35], v[24:31]
	scratch_load_b128 v[32:35], off, s33 offset:800
	v_wmma_f32_16x16x16_fp8_fp8 v[24:31], v[128:129], v[36:37], v[24:31]
	v_wmma_f32_16x16x16_fp8_fp8 v[24:31], v[130:131], v[38:39], v[24:31]
	scratch_load_b128 v[36:39], off, s33 offset:816
	s_wait_loadcnt 0x1
	v_wmma_f32_16x16x16_fp8_fp8 v[0:7], v[98:99], v[32:33], v[0:7]
	s_delay_alu instid0(VALU_DEP_1) | instskip(SKIP_1) | instid1(VALU_DEP_1)
	v_wmma_f32_16x16x16_fp8_fp8 v[0:7], v[100:101], v[34:35], v[0:7]
	s_wait_loadcnt 0x0
	v_wmma_f32_16x16x16_fp8_fp8 v[0:7], v[112:113], v[36:37], v[0:7]
	s_delay_alu instid0(VALU_DEP_1)
	v_wmma_f32_16x16x16_fp8_fp8 v[0:7], v[114:115], v[38:39], v[0:7]
	flat_store_b128 v[52:53], v[0:3] offset:256
	scratch_load_b128 v[0:3], off, s33 offset:864
	flat_store_b128 v[52:53], v[4:7] offset:272
	scratch_load_b128 v[4:7], off, s33 offset:880
	s_wait_loadcnt 0x1
	v_nop
	v_wmma_f32_16x16x16_fp8_fp8 v[8:15], v[98:99], v[0:1], v[8:15]
	s_delay_alu instid0(VALU_DEP_1) | instskip(SKIP_3) | instid1(VALU_DEP_1)
	v_wmma_f32_16x16x16_fp8_fp8 v[8:15], v[100:101], v[2:3], v[8:15]
	scratch_load_b128 v[0:3], off, s33 offset:928
	s_wait_loadcnt 0x1
	v_wmma_f32_16x16x16_fp8_fp8 v[8:15], v[112:113], v[4:5], v[8:15]
	v_wmma_f32_16x16x16_fp8_fp8 v[8:15], v[114:115], v[6:7], v[8:15]
	scratch_load_b128 v[4:7], off, s33 offset:944
	s_clause 0x1
	flat_store_b128 v[52:53], v[12:15] offset:304
	flat_store_b128 v[52:53], v[8:11] offset:288
	s_wait_loadcnt 0x1
	v_wmma_f32_16x16x16_fp8_fp8 v[16:23], v[98:99], v[0:1], v[16:23]
	s_delay_alu instid0(VALU_DEP_1) | instskip(SKIP_3) | instid1(VALU_DEP_1)
	v_wmma_f32_16x16x16_fp8_fp8 v[16:23], v[100:101], v[2:3], v[16:23]
	scratch_load_b128 v[0:3], off, s33 offset:992
	s_wait_loadcnt 0x1
	v_wmma_f32_16x16x16_fp8_fp8 v[16:23], v[112:113], v[4:5], v[16:23]
	v_wmma_f32_16x16x16_fp8_fp8 v[16:23], v[114:115], v[6:7], v[16:23]
	scratch_load_b128 v[4:7], off, s33 offset:1008
	s_clause 0x1
	flat_store_b128 v[52:53], v[20:23] offset:336
	flat_store_b128 v[52:53], v[16:19] offset:320
	s_wait_loadcnt 0x1
	v_wmma_f32_16x16x16_fp8_fp8 v[24:31], v[98:99], v[0:1], v[24:31]
	s_delay_alu instid0(VALU_DEP_1) | instskip(SKIP_1) | instid1(VALU_DEP_1)
	v_wmma_f32_16x16x16_fp8_fp8 v[24:31], v[100:101], v[2:3], v[24:31]
	s_wait_loadcnt 0x0
	v_wmma_f32_16x16x16_fp8_fp8 v[24:31], v[112:113], v[4:5], v[24:31]
	s_delay_alu instid0(VALU_DEP_1)
	v_wmma_f32_16x16x16_fp8_fp8 v[24:31], v[114:115], v[6:7], v[24:31]
	s_clause 0x1
	flat_store_b128 v[52:53], v[28:31] offset:368
	flat_store_b128 v[52:53], v[24:27] offset:352
	s_clause 0x3
	flat_load_b64 v[7:8], v[64:65] offset:1148
	flat_load_b64 v[9:10], v[64:65] offset:1164
	flat_load_b128 v[0:3], v[64:65] offset:1176
	flat_load_b96 v[4:6], v[64:65] offset:1132
	s_wait_loadcnt_dscnt 0x202
	v_sub_nc_u32_e32 v7, v7, v10
	s_wait_loadcnt_dscnt 0x101
	v_add_nc_u32_e32 v0, v9, v0
	s_wait_loadcnt_dscnt 0x0
	v_sub_nc_u32_e32 v2, v4, v2
	v_add3_u32 v1, v7, v1, 0x60
	v_sub_nc_u32_e32 v7, v8, v9
	v_sub_nc_u32_e32 v8, v8, v0
	s_delay_alu instid0(VALU_DEP_3) | instskip(NEXT) | instid1(VALU_DEP_1)
	v_ashrrev_i32_e32 v10, 31, v1
	v_lshrrev_b32_e32 v10, 29, v10
	s_delay_alu instid0(VALU_DEP_1) | instskip(NEXT) | instid1(VALU_DEP_1)
	v_add_nc_u32_e32 v10, v1, v10
	v_and_b32_e32 v10, -8, v10
	s_delay_alu instid0(VALU_DEP_1) | instskip(SKIP_1) | instid1(VALU_DEP_2)
	v_sub_nc_u32_e32 v12, v1, v10
	v_sub_nc_u32_e32 v1, v1, v6
	v_xor_b32_e32 v7, v12, v7
	s_delay_alu instid0(VALU_DEP_2) | instskip(NEXT) | instid1(VALU_DEP_2)
	v_lshlrev_b32_e32 v1, 7, v1
	v_sub_nc_u32_e32 v6, v7, v5
	s_delay_alu instid0(VALU_DEP_2) | instskip(NEXT) | instid1(VALU_DEP_2)
	v_add_nc_u32_e32 v2, v2, v1
	v_lshlrev_b32_e32 v6, 4, v6
	s_delay_alu instid0(VALU_DEP_1)
	v_add3_u32 v10, v1, v4, v6
	flat_load_b64 v[6:7], v[54:55] offset:16
	v_ashrrev_i32_e32 v11, 31, v10
	s_wait_loadcnt_dscnt 0x0
	v_add_co_u32 v10, vcc_lo, v6, v10
	s_wait_alu 0xfffd
	s_delay_alu instid0(VALU_DEP_2) | instskip(SKIP_2) | instid1(VALU_DEP_1)
	v_add_co_ci_u32_e64 v11, null, v7, v11, vcc_lo
	flat_load_b128 v[98:101], v[10:11]
	v_add_nc_u32_e32 v10, 16, v3
	v_ashrrev_i32_e32 v11, 31, v10
	s_delay_alu instid0(VALU_DEP_1) | instskip(NEXT) | instid1(VALU_DEP_1)
	v_lshrrev_b32_e32 v11, 28, v11
	v_add_nc_u32_e32 v11, v10, v11
	s_delay_alu instid0(VALU_DEP_1) | instskip(SKIP_1) | instid1(VALU_DEP_2)
	v_lshrrev_b32_e32 v13, 4, v11
	v_and_b32_e32 v11, -16, v11
	v_add_nc_u32_e32 v0, v13, v8
	s_delay_alu instid0(VALU_DEP_2) | instskip(NEXT) | instid1(VALU_DEP_2)
	v_sub_nc_u32_e32 v10, v10, v11
	v_xor_b32_e32 v0, v0, v12
	s_delay_alu instid0(VALU_DEP_1) | instskip(NEXT) | instid1(VALU_DEP_1)
	v_sub_nc_u32_e32 v0, v0, v5
	v_lshlrev_b32_e32 v0, 4, v0
	s_delay_alu instid0(VALU_DEP_1) | instskip(NEXT) | instid1(VALU_DEP_1)
	v_add3_u32 v0, v10, v2, v0
	v_ashrrev_i32_e32 v1, 31, v0
	v_add_co_u32 v0, vcc_lo, v6, v0
	s_wait_alu 0xfffd
	s_delay_alu instid0(VALU_DEP_2) | instskip(SKIP_2) | instid1(VALU_DEP_1)
	v_add_co_ci_u32_e64 v1, null, v7, v1, vcc_lo
	flat_load_b128 v[112:115], v[0:1]
	v_add_nc_u32_e32 v0, 64, v3
	v_ashrrev_i32_e32 v1, 31, v0
	s_delay_alu instid0(VALU_DEP_1) | instskip(NEXT) | instid1(VALU_DEP_1)
	v_lshrrev_b32_e32 v1, 28, v1
	v_add_nc_u32_e32 v1, v0, v1
	s_delay_alu instid0(VALU_DEP_1) | instskip(SKIP_1) | instid1(VALU_DEP_1)
	v_lshrrev_b32_e32 v4, 4, v1
	v_and_b32_e32 v1, -16, v1
	v_sub_nc_u32_e32 v0, v0, v1
	s_delay_alu instid0(VALU_DEP_3) | instskip(NEXT) | instid1(VALU_DEP_1)
	v_add_nc_u32_e32 v1, v4, v8
	v_xor_b32_e32 v1, v1, v12
	s_delay_alu instid0(VALU_DEP_1) | instskip(NEXT) | instid1(VALU_DEP_1)
	v_sub_nc_u32_e32 v1, v1, v5
	v_lshlrev_b32_e32 v1, 4, v1
	s_delay_alu instid0(VALU_DEP_1) | instskip(NEXT) | instid1(VALU_DEP_1)
	v_add3_u32 v0, v0, v2, v1
	v_ashrrev_i32_e32 v1, 31, v0
	v_add_co_u32 v0, vcc_lo, v6, v0
	s_wait_alu 0xfffd
	s_delay_alu instid0(VALU_DEP_2) | instskip(SKIP_2) | instid1(VALU_DEP_1)
	v_add_co_ci_u32_e64 v1, null, v7, v1, vcc_lo
	flat_load_b128 v[116:119], v[0:1]
	v_add_nc_u32_e32 v0, 0x50, v3
	v_ashrrev_i32_e32 v1, 31, v0
	s_delay_alu instid0(VALU_DEP_1) | instskip(NEXT) | instid1(VALU_DEP_1)
	v_lshrrev_b32_e32 v1, 28, v1
	v_add_nc_u32_e32 v1, v0, v1
	s_delay_alu instid0(VALU_DEP_1) | instskip(SKIP_1) | instid1(VALU_DEP_1)
	v_lshrrev_b32_e32 v3, 4, v1
	v_and_b32_e32 v1, -16, v1
	v_sub_nc_u32_e32 v0, v0, v1
	s_delay_alu instid0(VALU_DEP_3) | instskip(SKIP_1) | instid1(VALU_DEP_2)
	v_add_nc_u32_e32 v1, v3, v8
	v_mov_b32_e32 v3, s15
	v_xor_b32_e32 v1, v1, v12
	s_delay_alu instid0(VALU_DEP_1) | instskip(NEXT) | instid1(VALU_DEP_1)
	v_sub_nc_u32_e32 v1, v1, v5
	v_lshlrev_b32_e32 v1, 4, v1
	s_delay_alu instid0(VALU_DEP_1) | instskip(SKIP_1) | instid1(VALU_DEP_2)
	v_add3_u32 v0, v0, v2, v1
	v_mov_b32_e32 v2, s14
	v_ashrrev_i32_e32 v1, 31, v0
	v_add_co_u32 v0, vcc_lo, v6, v0
	s_wait_alu 0xfffd
	s_delay_alu instid0(VALU_DEP_2)
	v_add_co_ci_u32_e64 v1, null, v7, v1, vcc_lo
	flat_load_b128 v[128:131], v[0:1]
	v_dual_mov_b32 v0, s12 :: v_dual_mov_b32 v1, s13
	s_wait_alu 0xfffe
	s_swappc_b64 s[30:31], s[0:1]
	; sched_group_barrier mask(0x00000008) size(3) SyncID(0)
	; sched_group_barrier mask(0x00000020) size(1) SyncID(0)
	;; [unrolled: 1-line block ×24, first 2 shown]
	; sched_barrier mask(0x00000000)
	scratch_load_b128 v[8:11], off, s33 offset:768
	s_clause 0x1
	flat_load_b128 v[4:7], v[52:53] offset:400
	flat_load_b128 v[0:3], v[52:53] offset:384
	s_clause 0x6
	scratch_load_b128 v[12:15], off, s33 offset:784
	scratch_load_b128 v[16:19], off, s33 offset:832
	;; [unrolled: 1-line block ×7, first 2 shown]
	s_wait_loadcnt_dscnt 0x700
	v_wmma_f32_16x16x16_fp8_fp8 v[0:7], v[98:99], v[8:9], v[0:7]
	s_delay_alu instid0(VALU_DEP_1) | instskip(SKIP_3) | instid1(VALU_DEP_1)
	v_wmma_f32_16x16x16_fp8_fp8 v[0:7], v[100:101], v[10:11], v[0:7]
	flat_load_b128 v[8:11], v[52:53] offset:416
	s_wait_loadcnt 0x7
	v_wmma_f32_16x16x16_fp8_fp8 v[0:7], v[112:113], v[12:13], v[0:7]
	v_wmma_f32_16x16x16_fp8_fp8 v[0:7], v[114:115], v[14:15], v[0:7]
	flat_load_b128 v[12:15], v[52:53] offset:432
	s_wait_loadcnt_dscnt 0x0
	v_wmma_f32_16x16x16_fp8_fp8 v[8:15], v[98:99], v[16:17], v[8:15]
	s_delay_alu instid0(VALU_DEP_1) | instskip(SKIP_2) | instid1(VALU_DEP_1)
	v_wmma_f32_16x16x16_fp8_fp8 v[8:15], v[100:101], v[18:19], v[8:15]
	flat_load_b128 v[16:19], v[52:53] offset:448
	v_wmma_f32_16x16x16_fp8_fp8 v[8:15], v[112:113], v[20:21], v[8:15]
	v_wmma_f32_16x16x16_fp8_fp8 v[8:15], v[114:115], v[22:23], v[8:15]
	flat_load_b128 v[20:23], v[52:53] offset:464
	s_wait_loadcnt_dscnt 0x0
	v_wmma_f32_16x16x16_fp8_fp8 v[16:23], v[98:99], v[24:25], v[16:23]
	s_delay_alu instid0(VALU_DEP_1) | instskip(SKIP_2) | instid1(VALU_DEP_1)
	v_wmma_f32_16x16x16_fp8_fp8 v[16:23], v[100:101], v[26:27], v[16:23]
	flat_load_b128 v[24:27], v[52:53] offset:480
	v_wmma_f32_16x16x16_fp8_fp8 v[16:23], v[112:113], v[28:29], v[16:23]
	v_wmma_f32_16x16x16_fp8_fp8 v[16:23], v[114:115], v[30:31], v[16:23]
	flat_load_b128 v[28:31], v[52:53] offset:496
	s_wait_loadcnt_dscnt 0x0
	v_wmma_f32_16x16x16_fp8_fp8 v[24:31], v[98:99], v[32:33], v[24:31]
	s_delay_alu instid0(VALU_DEP_1) | instskip(SKIP_2) | instid1(VALU_DEP_1)
	v_wmma_f32_16x16x16_fp8_fp8 v[24:31], v[100:101], v[34:35], v[24:31]
	scratch_load_b128 v[32:35], off, s33 offset:800
	v_wmma_f32_16x16x16_fp8_fp8 v[24:31], v[112:113], v[36:37], v[24:31]
	v_wmma_f32_16x16x16_fp8_fp8 v[24:31], v[114:115], v[38:39], v[24:31]
	scratch_load_b128 v[36:39], off, s33 offset:816
	s_wait_loadcnt 0x1
	v_wmma_f32_16x16x16_fp8_fp8 v[0:7], v[116:117], v[32:33], v[0:7]
	s_delay_alu instid0(VALU_DEP_1) | instskip(SKIP_1) | instid1(VALU_DEP_1)
	v_wmma_f32_16x16x16_fp8_fp8 v[0:7], v[118:119], v[34:35], v[0:7]
	s_wait_loadcnt 0x0
	v_wmma_f32_16x16x16_fp8_fp8 v[0:7], v[128:129], v[36:37], v[0:7]
	s_delay_alu instid0(VALU_DEP_1)
	v_wmma_f32_16x16x16_fp8_fp8 v[0:7], v[130:131], v[38:39], v[0:7]
	flat_store_b128 v[52:53], v[0:3] offset:384
	scratch_load_b128 v[0:3], off, s33 offset:864
	flat_store_b128 v[52:53], v[4:7] offset:400
	scratch_load_b128 v[4:7], off, s33 offset:880
	s_wait_loadcnt 0x1
	v_nop
	v_wmma_f32_16x16x16_fp8_fp8 v[8:15], v[116:117], v[0:1], v[8:15]
	s_delay_alu instid0(VALU_DEP_1) | instskip(SKIP_3) | instid1(VALU_DEP_1)
	v_wmma_f32_16x16x16_fp8_fp8 v[8:15], v[118:119], v[2:3], v[8:15]
	scratch_load_b128 v[0:3], off, s33 offset:928
	s_wait_loadcnt 0x1
	v_wmma_f32_16x16x16_fp8_fp8 v[8:15], v[128:129], v[4:5], v[8:15]
	v_wmma_f32_16x16x16_fp8_fp8 v[8:15], v[130:131], v[6:7], v[8:15]
	scratch_load_b128 v[4:7], off, s33 offset:944
	s_clause 0x1
	flat_store_b128 v[52:53], v[12:15] offset:432
	flat_store_b128 v[52:53], v[8:11] offset:416
	s_wait_loadcnt 0x1
	v_wmma_f32_16x16x16_fp8_fp8 v[16:23], v[116:117], v[0:1], v[16:23]
	s_delay_alu instid0(VALU_DEP_1) | instskip(SKIP_3) | instid1(VALU_DEP_1)
	v_wmma_f32_16x16x16_fp8_fp8 v[16:23], v[118:119], v[2:3], v[16:23]
	scratch_load_b128 v[0:3], off, s33 offset:992
	s_wait_loadcnt 0x1
	v_wmma_f32_16x16x16_fp8_fp8 v[16:23], v[128:129], v[4:5], v[16:23]
	v_wmma_f32_16x16x16_fp8_fp8 v[16:23], v[130:131], v[6:7], v[16:23]
	scratch_load_b128 v[4:7], off, s33 offset:1008
	s_clause 0x1
	flat_store_b128 v[52:53], v[20:23] offset:464
	flat_store_b128 v[52:53], v[16:19] offset:448
	s_wait_loadcnt 0x1
	v_wmma_f32_16x16x16_fp8_fp8 v[24:31], v[116:117], v[0:1], v[24:31]
	s_delay_alu instid0(VALU_DEP_1) | instskip(SKIP_1) | instid1(VALU_DEP_1)
	v_wmma_f32_16x16x16_fp8_fp8 v[24:31], v[118:119], v[2:3], v[24:31]
	s_wait_loadcnt 0x0
	v_wmma_f32_16x16x16_fp8_fp8 v[24:31], v[128:129], v[4:5], v[24:31]
	s_delay_alu instid0(VALU_DEP_1)
	v_wmma_f32_16x16x16_fp8_fp8 v[24:31], v[130:131], v[6:7], v[24:31]
	s_clause 0x1
	flat_store_b128 v[52:53], v[28:31] offset:496
	flat_store_b128 v[52:53], v[24:27] offset:480
	s_clause 0x3
	flat_load_b64 v[7:8], v[64:65] offset:1148
	flat_load_b64 v[9:10], v[64:65] offset:1164
	flat_load_b128 v[0:3], v[64:65] offset:1176
	flat_load_b96 v[4:6], v[64:65] offset:1132
	s_wait_loadcnt_dscnt 0x202
	v_sub_nc_u32_e32 v7, v7, v10
	s_wait_loadcnt_dscnt 0x101
	v_add_nc_u32_e32 v0, v9, v0
	s_wait_loadcnt_dscnt 0x0
	v_sub_nc_u32_e32 v2, v4, v2
	v_add3_u32 v1, v7, v1, 0x80
	v_sub_nc_u32_e32 v7, v8, v9
	v_sub_nc_u32_e32 v8, v8, v0
	s_delay_alu instid0(VALU_DEP_3) | instskip(NEXT) | instid1(VALU_DEP_1)
	v_ashrrev_i32_e32 v10, 31, v1
	v_lshrrev_b32_e32 v10, 29, v10
	s_delay_alu instid0(VALU_DEP_1) | instskip(NEXT) | instid1(VALU_DEP_1)
	v_add_nc_u32_e32 v10, v1, v10
	v_and_b32_e32 v10, -8, v10
	s_delay_alu instid0(VALU_DEP_1) | instskip(SKIP_1) | instid1(VALU_DEP_2)
	v_sub_nc_u32_e32 v12, v1, v10
	v_sub_nc_u32_e32 v1, v1, v6
	v_xor_b32_e32 v7, v12, v7
	s_delay_alu instid0(VALU_DEP_2) | instskip(NEXT) | instid1(VALU_DEP_2)
	v_lshlrev_b32_e32 v1, 7, v1
	v_sub_nc_u32_e32 v6, v7, v5
	s_delay_alu instid0(VALU_DEP_2) | instskip(NEXT) | instid1(VALU_DEP_2)
	v_add_nc_u32_e32 v2, v2, v1
	v_lshlrev_b32_e32 v6, 4, v6
	s_delay_alu instid0(VALU_DEP_1)
	v_add3_u32 v10, v1, v4, v6
	flat_load_b64 v[6:7], v[54:55] offset:16
	v_ashrrev_i32_e32 v11, 31, v10
	s_wait_loadcnt_dscnt 0x0
	v_add_co_u32 v10, vcc_lo, v6, v10
	s_wait_alu 0xfffd
	s_delay_alu instid0(VALU_DEP_2) | instskip(SKIP_2) | instid1(VALU_DEP_1)
	v_add_co_ci_u32_e64 v11, null, v7, v11, vcc_lo
	flat_load_b128 v[98:101], v[10:11]
	v_add_nc_u32_e32 v10, 16, v3
	v_ashrrev_i32_e32 v11, 31, v10
	s_delay_alu instid0(VALU_DEP_1) | instskip(NEXT) | instid1(VALU_DEP_1)
	v_lshrrev_b32_e32 v11, 28, v11
	v_add_nc_u32_e32 v11, v10, v11
	s_delay_alu instid0(VALU_DEP_1) | instskip(SKIP_1) | instid1(VALU_DEP_2)
	v_lshrrev_b32_e32 v13, 4, v11
	v_and_b32_e32 v11, -16, v11
	v_add_nc_u32_e32 v0, v13, v8
	s_delay_alu instid0(VALU_DEP_2) | instskip(NEXT) | instid1(VALU_DEP_2)
	v_sub_nc_u32_e32 v10, v10, v11
	v_xor_b32_e32 v0, v0, v12
	s_delay_alu instid0(VALU_DEP_1) | instskip(NEXT) | instid1(VALU_DEP_1)
	v_sub_nc_u32_e32 v0, v0, v5
	v_lshlrev_b32_e32 v0, 4, v0
	s_delay_alu instid0(VALU_DEP_1) | instskip(NEXT) | instid1(VALU_DEP_1)
	v_add3_u32 v0, v10, v2, v0
	v_ashrrev_i32_e32 v1, 31, v0
	v_add_co_u32 v0, vcc_lo, v6, v0
	s_wait_alu 0xfffd
	s_delay_alu instid0(VALU_DEP_2) | instskip(SKIP_2) | instid1(VALU_DEP_1)
	v_add_co_ci_u32_e64 v1, null, v7, v1, vcc_lo
	flat_load_b128 v[112:115], v[0:1]
	v_add_nc_u32_e32 v0, 64, v3
	v_ashrrev_i32_e32 v1, 31, v0
	s_delay_alu instid0(VALU_DEP_1) | instskip(NEXT) | instid1(VALU_DEP_1)
	v_lshrrev_b32_e32 v1, 28, v1
	v_add_nc_u32_e32 v1, v0, v1
	s_delay_alu instid0(VALU_DEP_1) | instskip(SKIP_1) | instid1(VALU_DEP_1)
	v_lshrrev_b32_e32 v4, 4, v1
	v_and_b32_e32 v1, -16, v1
	v_sub_nc_u32_e32 v0, v0, v1
	s_delay_alu instid0(VALU_DEP_3) | instskip(NEXT) | instid1(VALU_DEP_1)
	v_add_nc_u32_e32 v1, v4, v8
	v_xor_b32_e32 v1, v1, v12
	s_delay_alu instid0(VALU_DEP_1) | instskip(NEXT) | instid1(VALU_DEP_1)
	v_sub_nc_u32_e32 v1, v1, v5
	v_lshlrev_b32_e32 v1, 4, v1
	s_delay_alu instid0(VALU_DEP_1) | instskip(NEXT) | instid1(VALU_DEP_1)
	v_add3_u32 v0, v0, v2, v1
	v_ashrrev_i32_e32 v1, 31, v0
	v_add_co_u32 v0, vcc_lo, v6, v0
	s_wait_alu 0xfffd
	s_delay_alu instid0(VALU_DEP_2) | instskip(SKIP_2) | instid1(VALU_DEP_1)
	v_add_co_ci_u32_e64 v1, null, v7, v1, vcc_lo
	flat_load_b128 v[116:119], v[0:1]
	v_add_nc_u32_e32 v0, 0x50, v3
	v_ashrrev_i32_e32 v1, 31, v0
	s_delay_alu instid0(VALU_DEP_1) | instskip(NEXT) | instid1(VALU_DEP_1)
	v_lshrrev_b32_e32 v1, 28, v1
	v_add_nc_u32_e32 v1, v0, v1
	s_delay_alu instid0(VALU_DEP_1) | instskip(SKIP_1) | instid1(VALU_DEP_1)
	v_lshrrev_b32_e32 v3, 4, v1
	v_and_b32_e32 v1, -16, v1
	v_sub_nc_u32_e32 v0, v0, v1
	s_delay_alu instid0(VALU_DEP_3) | instskip(SKIP_1) | instid1(VALU_DEP_2)
	v_add_nc_u32_e32 v1, v3, v8
	v_mov_b32_e32 v3, s15
	v_xor_b32_e32 v1, v1, v12
	s_delay_alu instid0(VALU_DEP_1) | instskip(NEXT) | instid1(VALU_DEP_1)
	v_sub_nc_u32_e32 v1, v1, v5
	v_lshlrev_b32_e32 v1, 4, v1
	s_delay_alu instid0(VALU_DEP_1) | instskip(SKIP_1) | instid1(VALU_DEP_2)
	v_add3_u32 v0, v0, v2, v1
	v_mov_b32_e32 v2, s14
	v_ashrrev_i32_e32 v1, 31, v0
	v_add_co_u32 v0, vcc_lo, v6, v0
	s_wait_alu 0xfffd
	s_delay_alu instid0(VALU_DEP_2)
	v_add_co_ci_u32_e64 v1, null, v7, v1, vcc_lo
	flat_load_b128 v[128:131], v[0:1]
	v_dual_mov_b32 v0, s12 :: v_dual_mov_b32 v1, s13
	s_wait_alu 0xfffe
	s_swappc_b64 s[30:31], s[0:1]
	; sched_group_barrier mask(0x00000008) size(8) SyncID(0)
	; sched_group_barrier mask(0x00000100) size(1) SyncID(0)
	;; [unrolled: 1-line block ×8, first 2 shown]
	; sched_barrier mask(0x00000000)
	scratch_load_b128 v[8:11], off, s33 offset:768
	s_clause 0x1
	flat_load_b128 v[4:7], v[52:53] offset:528
	flat_load_b128 v[0:3], v[52:53] offset:512
	s_clause 0x6
	scratch_load_b128 v[12:15], off, s33 offset:784
	scratch_load_b128 v[16:19], off, s33 offset:832
	;; [unrolled: 1-line block ×7, first 2 shown]
	s_wait_loadcnt_dscnt 0x700
	v_wmma_f32_16x16x16_fp8_fp8 v[0:7], v[98:99], v[8:9], v[0:7]
	s_delay_alu instid0(VALU_DEP_1) | instskip(SKIP_3) | instid1(VALU_DEP_1)
	v_wmma_f32_16x16x16_fp8_fp8 v[0:7], v[100:101], v[10:11], v[0:7]
	flat_load_b128 v[8:11], v[52:53] offset:544
	s_wait_loadcnt 0x7
	v_wmma_f32_16x16x16_fp8_fp8 v[0:7], v[112:113], v[12:13], v[0:7]
	v_wmma_f32_16x16x16_fp8_fp8 v[0:7], v[114:115], v[14:15], v[0:7]
	flat_load_b128 v[12:15], v[52:53] offset:560
	s_wait_loadcnt_dscnt 0x0
	v_wmma_f32_16x16x16_fp8_fp8 v[8:15], v[98:99], v[16:17], v[8:15]
	s_delay_alu instid0(VALU_DEP_1) | instskip(SKIP_2) | instid1(VALU_DEP_1)
	v_wmma_f32_16x16x16_fp8_fp8 v[8:15], v[100:101], v[18:19], v[8:15]
	flat_load_b128 v[16:19], v[52:53] offset:576
	v_wmma_f32_16x16x16_fp8_fp8 v[8:15], v[112:113], v[20:21], v[8:15]
	v_wmma_f32_16x16x16_fp8_fp8 v[8:15], v[114:115], v[22:23], v[8:15]
	flat_load_b128 v[20:23], v[52:53] offset:592
	s_wait_loadcnt_dscnt 0x0
	v_wmma_f32_16x16x16_fp8_fp8 v[16:23], v[98:99], v[24:25], v[16:23]
	s_delay_alu instid0(VALU_DEP_1) | instskip(SKIP_2) | instid1(VALU_DEP_1)
	v_wmma_f32_16x16x16_fp8_fp8 v[16:23], v[100:101], v[26:27], v[16:23]
	flat_load_b128 v[24:27], v[52:53] offset:608
	v_wmma_f32_16x16x16_fp8_fp8 v[16:23], v[112:113], v[28:29], v[16:23]
	v_wmma_f32_16x16x16_fp8_fp8 v[16:23], v[114:115], v[30:31], v[16:23]
	flat_load_b128 v[28:31], v[52:53] offset:624
	s_wait_loadcnt_dscnt 0x0
	v_wmma_f32_16x16x16_fp8_fp8 v[24:31], v[98:99], v[32:33], v[24:31]
	s_delay_alu instid0(VALU_DEP_1) | instskip(SKIP_2) | instid1(VALU_DEP_1)
	v_wmma_f32_16x16x16_fp8_fp8 v[24:31], v[100:101], v[34:35], v[24:31]
	scratch_load_b128 v[32:35], off, s33 offset:800
	v_wmma_f32_16x16x16_fp8_fp8 v[24:31], v[112:113], v[36:37], v[24:31]
	v_wmma_f32_16x16x16_fp8_fp8 v[24:31], v[114:115], v[38:39], v[24:31]
	scratch_load_b128 v[36:39], off, s33 offset:816
	s_wait_loadcnt 0x1
	v_wmma_f32_16x16x16_fp8_fp8 v[0:7], v[116:117], v[32:33], v[0:7]
	s_delay_alu instid0(VALU_DEP_1) | instskip(SKIP_1) | instid1(VALU_DEP_1)
	v_wmma_f32_16x16x16_fp8_fp8 v[0:7], v[118:119], v[34:35], v[0:7]
	s_wait_loadcnt 0x0
	v_wmma_f32_16x16x16_fp8_fp8 v[0:7], v[128:129], v[36:37], v[0:7]
	s_delay_alu instid0(VALU_DEP_1)
	v_wmma_f32_16x16x16_fp8_fp8 v[0:7], v[130:131], v[38:39], v[0:7]
	flat_store_b128 v[52:53], v[0:3] offset:512
	scratch_load_b128 v[0:3], off, s33 offset:864
	flat_store_b128 v[52:53], v[4:7] offset:528
	scratch_load_b128 v[4:7], off, s33 offset:880
	s_wait_loadcnt 0x1
	v_nop
	v_wmma_f32_16x16x16_fp8_fp8 v[8:15], v[116:117], v[0:1], v[8:15]
	s_delay_alu instid0(VALU_DEP_1) | instskip(SKIP_3) | instid1(VALU_DEP_1)
	v_wmma_f32_16x16x16_fp8_fp8 v[8:15], v[118:119], v[2:3], v[8:15]
	scratch_load_b128 v[0:3], off, s33 offset:928
	s_wait_loadcnt 0x1
	v_wmma_f32_16x16x16_fp8_fp8 v[8:15], v[128:129], v[4:5], v[8:15]
	v_wmma_f32_16x16x16_fp8_fp8 v[8:15], v[130:131], v[6:7], v[8:15]
	scratch_load_b128 v[4:7], off, s33 offset:944
	s_clause 0x1
	flat_store_b128 v[52:53], v[12:15] offset:560
	flat_store_b128 v[52:53], v[8:11] offset:544
	s_wait_loadcnt 0x1
	v_wmma_f32_16x16x16_fp8_fp8 v[16:23], v[116:117], v[0:1], v[16:23]
	s_delay_alu instid0(VALU_DEP_1) | instskip(SKIP_3) | instid1(VALU_DEP_1)
	v_wmma_f32_16x16x16_fp8_fp8 v[16:23], v[118:119], v[2:3], v[16:23]
	scratch_load_b128 v[0:3], off, s33 offset:992
	s_wait_loadcnt 0x1
	v_wmma_f32_16x16x16_fp8_fp8 v[16:23], v[128:129], v[4:5], v[16:23]
	v_wmma_f32_16x16x16_fp8_fp8 v[16:23], v[130:131], v[6:7], v[16:23]
	scratch_load_b128 v[4:7], off, s33 offset:1008
	s_clause 0x1
	flat_store_b128 v[52:53], v[20:23] offset:592
	flat_store_b128 v[52:53], v[16:19] offset:576
	s_wait_loadcnt 0x1
	v_wmma_f32_16x16x16_fp8_fp8 v[24:31], v[116:117], v[0:1], v[24:31]
	s_delay_alu instid0(VALU_DEP_1) | instskip(SKIP_1) | instid1(VALU_DEP_1)
	v_wmma_f32_16x16x16_fp8_fp8 v[24:31], v[118:119], v[2:3], v[24:31]
	s_wait_loadcnt 0x0
	v_wmma_f32_16x16x16_fp8_fp8 v[24:31], v[128:129], v[4:5], v[24:31]
	s_delay_alu instid0(VALU_DEP_1)
	v_wmma_f32_16x16x16_fp8_fp8 v[24:31], v[130:131], v[6:7], v[24:31]
	s_clause 0x1
	flat_store_b128 v[52:53], v[28:31] offset:624
	flat_store_b128 v[52:53], v[24:27] offset:608
	s_clause 0x3
	flat_load_b64 v[7:8], v[64:65] offset:1148
	flat_load_b64 v[9:10], v[64:65] offset:1164
	flat_load_b128 v[0:3], v[64:65] offset:1176
	flat_load_b96 v[4:6], v[64:65] offset:1132
	s_wait_loadcnt_dscnt 0x202
	v_sub_nc_u32_e32 v7, v7, v10
	s_wait_loadcnt_dscnt 0x101
	v_add_nc_u32_e32 v0, v9, v0
	s_wait_loadcnt_dscnt 0x0
	v_sub_nc_u32_e32 v2, v4, v2
	v_add3_u32 v1, v7, v1, 0xa0
	v_sub_nc_u32_e32 v7, v8, v9
	v_sub_nc_u32_e32 v8, v8, v0
	s_delay_alu instid0(VALU_DEP_3) | instskip(NEXT) | instid1(VALU_DEP_1)
	v_ashrrev_i32_e32 v10, 31, v1
	v_lshrrev_b32_e32 v10, 29, v10
	s_delay_alu instid0(VALU_DEP_1) | instskip(NEXT) | instid1(VALU_DEP_1)
	v_add_nc_u32_e32 v10, v1, v10
	v_and_b32_e32 v10, -8, v10
	s_delay_alu instid0(VALU_DEP_1) | instskip(SKIP_1) | instid1(VALU_DEP_2)
	v_sub_nc_u32_e32 v12, v1, v10
	v_sub_nc_u32_e32 v1, v1, v6
	v_xor_b32_e32 v7, v12, v7
	s_delay_alu instid0(VALU_DEP_2) | instskip(NEXT) | instid1(VALU_DEP_2)
	v_lshlrev_b32_e32 v1, 7, v1
	v_sub_nc_u32_e32 v6, v7, v5
	s_delay_alu instid0(VALU_DEP_2) | instskip(NEXT) | instid1(VALU_DEP_2)
	v_add_nc_u32_e32 v2, v2, v1
	v_lshlrev_b32_e32 v6, 4, v6
	s_delay_alu instid0(VALU_DEP_1)
	v_add3_u32 v10, v1, v4, v6
	flat_load_b64 v[6:7], v[54:55] offset:16
	v_ashrrev_i32_e32 v11, 31, v10
	s_wait_loadcnt_dscnt 0x0
	v_add_co_u32 v10, vcc_lo, v6, v10
	s_wait_alu 0xfffd
	s_delay_alu instid0(VALU_DEP_2) | instskip(SKIP_2) | instid1(VALU_DEP_1)
	v_add_co_ci_u32_e64 v11, null, v7, v11, vcc_lo
	flat_load_b128 v[98:101], v[10:11]
	v_add_nc_u32_e32 v10, 16, v3
	v_ashrrev_i32_e32 v11, 31, v10
	s_delay_alu instid0(VALU_DEP_1) | instskip(NEXT) | instid1(VALU_DEP_1)
	v_lshrrev_b32_e32 v11, 28, v11
	v_add_nc_u32_e32 v11, v10, v11
	s_delay_alu instid0(VALU_DEP_1) | instskip(SKIP_1) | instid1(VALU_DEP_2)
	v_lshrrev_b32_e32 v13, 4, v11
	v_and_b32_e32 v11, -16, v11
	v_add_nc_u32_e32 v0, v13, v8
	s_delay_alu instid0(VALU_DEP_2) | instskip(NEXT) | instid1(VALU_DEP_2)
	v_sub_nc_u32_e32 v10, v10, v11
	v_xor_b32_e32 v0, v0, v12
	s_delay_alu instid0(VALU_DEP_1) | instskip(NEXT) | instid1(VALU_DEP_1)
	v_sub_nc_u32_e32 v0, v0, v5
	v_lshlrev_b32_e32 v0, 4, v0
	s_delay_alu instid0(VALU_DEP_1) | instskip(NEXT) | instid1(VALU_DEP_1)
	v_add3_u32 v0, v10, v2, v0
	v_ashrrev_i32_e32 v1, 31, v0
	v_add_co_u32 v0, vcc_lo, v6, v0
	s_wait_alu 0xfffd
	s_delay_alu instid0(VALU_DEP_2) | instskip(SKIP_2) | instid1(VALU_DEP_1)
	v_add_co_ci_u32_e64 v1, null, v7, v1, vcc_lo
	flat_load_b128 v[112:115], v[0:1]
	v_add_nc_u32_e32 v0, 64, v3
	v_ashrrev_i32_e32 v1, 31, v0
	s_delay_alu instid0(VALU_DEP_1) | instskip(NEXT) | instid1(VALU_DEP_1)
	v_lshrrev_b32_e32 v1, 28, v1
	v_add_nc_u32_e32 v1, v0, v1
	s_delay_alu instid0(VALU_DEP_1) | instskip(SKIP_1) | instid1(VALU_DEP_1)
	v_lshrrev_b32_e32 v4, 4, v1
	v_and_b32_e32 v1, -16, v1
	v_sub_nc_u32_e32 v0, v0, v1
	s_delay_alu instid0(VALU_DEP_3) | instskip(NEXT) | instid1(VALU_DEP_1)
	v_add_nc_u32_e32 v1, v4, v8
	v_xor_b32_e32 v1, v1, v12
	s_delay_alu instid0(VALU_DEP_1) | instskip(NEXT) | instid1(VALU_DEP_1)
	v_sub_nc_u32_e32 v1, v1, v5
	v_lshlrev_b32_e32 v1, 4, v1
	s_delay_alu instid0(VALU_DEP_1) | instskip(NEXT) | instid1(VALU_DEP_1)
	v_add3_u32 v0, v0, v2, v1
	v_ashrrev_i32_e32 v1, 31, v0
	v_add_co_u32 v0, vcc_lo, v6, v0
	s_wait_alu 0xfffd
	s_delay_alu instid0(VALU_DEP_2) | instskip(SKIP_2) | instid1(VALU_DEP_1)
	v_add_co_ci_u32_e64 v1, null, v7, v1, vcc_lo
	flat_load_b128 v[116:119], v[0:1]
	v_add_nc_u32_e32 v0, 0x50, v3
	v_ashrrev_i32_e32 v1, 31, v0
	s_delay_alu instid0(VALU_DEP_1) | instskip(NEXT) | instid1(VALU_DEP_1)
	v_lshrrev_b32_e32 v1, 28, v1
	v_add_nc_u32_e32 v1, v0, v1
	s_delay_alu instid0(VALU_DEP_1) | instskip(SKIP_1) | instid1(VALU_DEP_1)
	v_lshrrev_b32_e32 v3, 4, v1
	v_and_b32_e32 v1, -16, v1
	v_sub_nc_u32_e32 v0, v0, v1
	s_delay_alu instid0(VALU_DEP_3) | instskip(SKIP_1) | instid1(VALU_DEP_2)
	v_add_nc_u32_e32 v1, v3, v8
	v_mov_b32_e32 v3, s15
	v_xor_b32_e32 v1, v1, v12
	s_delay_alu instid0(VALU_DEP_1) | instskip(NEXT) | instid1(VALU_DEP_1)
	v_sub_nc_u32_e32 v1, v1, v5
	v_lshlrev_b32_e32 v1, 4, v1
	s_delay_alu instid0(VALU_DEP_1) | instskip(SKIP_1) | instid1(VALU_DEP_2)
	v_add3_u32 v0, v0, v2, v1
	v_mov_b32_e32 v2, s14
	v_ashrrev_i32_e32 v1, 31, v0
	v_add_co_u32 v0, vcc_lo, v6, v0
	s_wait_alu 0xfffd
	s_delay_alu instid0(VALU_DEP_2)
	v_add_co_ci_u32_e64 v1, null, v7, v1, vcc_lo
	flat_load_b128 v[128:131], v[0:1]
	v_dual_mov_b32 v0, s12 :: v_dual_mov_b32 v1, s13
	s_wait_alu 0xfffe
	s_swappc_b64 s[30:31], s[0:1]
	; sched_group_barrier mask(0x00000008) size(8) SyncID(0)
	; sched_group_barrier mask(0x00000100) size(1) SyncID(0)
	;; [unrolled: 1-line block ×8, first 2 shown]
	; sched_barrier mask(0x00000000)
	scratch_load_b128 v[8:11], off, s33 offset:768
	s_clause 0x1
	flat_load_b128 v[4:7], v[52:53] offset:656
	flat_load_b128 v[0:3], v[52:53] offset:640
	s_clause 0x6
	scratch_load_b128 v[12:15], off, s33 offset:784
	scratch_load_b128 v[16:19], off, s33 offset:832
	;; [unrolled: 1-line block ×7, first 2 shown]
	s_wait_loadcnt_dscnt 0x700
	v_wmma_f32_16x16x16_fp8_fp8 v[0:7], v[98:99], v[8:9], v[0:7]
	s_delay_alu instid0(VALU_DEP_1) | instskip(SKIP_3) | instid1(VALU_DEP_1)
	v_wmma_f32_16x16x16_fp8_fp8 v[0:7], v[100:101], v[10:11], v[0:7]
	flat_load_b128 v[8:11], v[52:53] offset:672
	s_wait_loadcnt 0x7
	v_wmma_f32_16x16x16_fp8_fp8 v[0:7], v[112:113], v[12:13], v[0:7]
	v_wmma_f32_16x16x16_fp8_fp8 v[0:7], v[114:115], v[14:15], v[0:7]
	flat_load_b128 v[12:15], v[52:53] offset:688
	s_wait_loadcnt_dscnt 0x0
	v_wmma_f32_16x16x16_fp8_fp8 v[8:15], v[98:99], v[16:17], v[8:15]
	s_delay_alu instid0(VALU_DEP_1) | instskip(SKIP_2) | instid1(VALU_DEP_1)
	v_wmma_f32_16x16x16_fp8_fp8 v[8:15], v[100:101], v[18:19], v[8:15]
	flat_load_b128 v[16:19], v[52:53] offset:704
	v_wmma_f32_16x16x16_fp8_fp8 v[8:15], v[112:113], v[20:21], v[8:15]
	v_wmma_f32_16x16x16_fp8_fp8 v[8:15], v[114:115], v[22:23], v[8:15]
	flat_load_b128 v[20:23], v[52:53] offset:720
	s_wait_loadcnt_dscnt 0x0
	v_wmma_f32_16x16x16_fp8_fp8 v[16:23], v[98:99], v[24:25], v[16:23]
	s_delay_alu instid0(VALU_DEP_1) | instskip(SKIP_2) | instid1(VALU_DEP_1)
	v_wmma_f32_16x16x16_fp8_fp8 v[16:23], v[100:101], v[26:27], v[16:23]
	flat_load_b128 v[24:27], v[52:53] offset:736
	v_wmma_f32_16x16x16_fp8_fp8 v[16:23], v[112:113], v[28:29], v[16:23]
	v_wmma_f32_16x16x16_fp8_fp8 v[16:23], v[114:115], v[30:31], v[16:23]
	flat_load_b128 v[28:31], v[52:53] offset:752
	s_wait_loadcnt_dscnt 0x0
	v_wmma_f32_16x16x16_fp8_fp8 v[24:31], v[98:99], v[32:33], v[24:31]
	s_delay_alu instid0(VALU_DEP_1) | instskip(SKIP_2) | instid1(VALU_DEP_1)
	v_wmma_f32_16x16x16_fp8_fp8 v[24:31], v[100:101], v[34:35], v[24:31]
	scratch_load_b128 v[32:35], off, s33 offset:800
	v_wmma_f32_16x16x16_fp8_fp8 v[24:31], v[112:113], v[36:37], v[24:31]
	v_wmma_f32_16x16x16_fp8_fp8 v[24:31], v[114:115], v[38:39], v[24:31]
	scratch_load_b128 v[36:39], off, s33 offset:816
	s_wait_loadcnt 0x1
	v_wmma_f32_16x16x16_fp8_fp8 v[0:7], v[116:117], v[32:33], v[0:7]
	s_delay_alu instid0(VALU_DEP_1) | instskip(SKIP_1) | instid1(VALU_DEP_1)
	v_wmma_f32_16x16x16_fp8_fp8 v[0:7], v[118:119], v[34:35], v[0:7]
	s_wait_loadcnt 0x0
	v_wmma_f32_16x16x16_fp8_fp8 v[0:7], v[128:129], v[36:37], v[0:7]
	s_delay_alu instid0(VALU_DEP_1)
	v_wmma_f32_16x16x16_fp8_fp8 v[0:7], v[130:131], v[38:39], v[0:7]
	flat_store_b128 v[52:53], v[0:3] offset:640
	scratch_load_b128 v[0:3], off, s33 offset:864
	flat_store_b128 v[52:53], v[4:7] offset:656
	scratch_load_b128 v[4:7], off, s33 offset:880
	s_wait_loadcnt 0x1
	v_nop
	v_wmma_f32_16x16x16_fp8_fp8 v[8:15], v[116:117], v[0:1], v[8:15]
	s_delay_alu instid0(VALU_DEP_1) | instskip(SKIP_3) | instid1(VALU_DEP_1)
	v_wmma_f32_16x16x16_fp8_fp8 v[8:15], v[118:119], v[2:3], v[8:15]
	scratch_load_b128 v[0:3], off, s33 offset:928
	s_wait_loadcnt 0x1
	v_wmma_f32_16x16x16_fp8_fp8 v[8:15], v[128:129], v[4:5], v[8:15]
	v_wmma_f32_16x16x16_fp8_fp8 v[8:15], v[130:131], v[6:7], v[8:15]
	scratch_load_b128 v[4:7], off, s33 offset:944
	s_clause 0x1
	flat_store_b128 v[52:53], v[12:15] offset:688
	flat_store_b128 v[52:53], v[8:11] offset:672
	s_wait_loadcnt 0x1
	v_wmma_f32_16x16x16_fp8_fp8 v[16:23], v[116:117], v[0:1], v[16:23]
	s_delay_alu instid0(VALU_DEP_1) | instskip(SKIP_3) | instid1(VALU_DEP_1)
	v_wmma_f32_16x16x16_fp8_fp8 v[16:23], v[118:119], v[2:3], v[16:23]
	scratch_load_b128 v[0:3], off, s33 offset:992
	s_wait_loadcnt 0x1
	v_wmma_f32_16x16x16_fp8_fp8 v[16:23], v[128:129], v[4:5], v[16:23]
	v_wmma_f32_16x16x16_fp8_fp8 v[16:23], v[130:131], v[6:7], v[16:23]
	scratch_load_b128 v[4:7], off, s33 offset:1008
	s_clause 0x1
	flat_store_b128 v[52:53], v[20:23] offset:720
	flat_store_b128 v[52:53], v[16:19] offset:704
	s_wait_loadcnt 0x1
	v_wmma_f32_16x16x16_fp8_fp8 v[24:31], v[116:117], v[0:1], v[24:31]
	s_delay_alu instid0(VALU_DEP_1) | instskip(SKIP_1) | instid1(VALU_DEP_1)
	v_wmma_f32_16x16x16_fp8_fp8 v[24:31], v[118:119], v[2:3], v[24:31]
	s_wait_loadcnt 0x0
	v_wmma_f32_16x16x16_fp8_fp8 v[24:31], v[128:129], v[4:5], v[24:31]
	s_delay_alu instid0(VALU_DEP_1)
	v_wmma_f32_16x16x16_fp8_fp8 v[24:31], v[130:131], v[6:7], v[24:31]
	s_clause 0x1
	flat_store_b128 v[52:53], v[28:31] offset:752
	flat_store_b128 v[52:53], v[24:27] offset:736
	s_clause 0x3
	flat_load_b64 v[7:8], v[64:65] offset:1148
	flat_load_b64 v[9:10], v[64:65] offset:1164
	flat_load_b128 v[0:3], v[64:65] offset:1176
	flat_load_b96 v[4:6], v[64:65] offset:1132
	s_wait_loadcnt_dscnt 0x202
	v_sub_nc_u32_e32 v7, v7, v10
	s_wait_loadcnt_dscnt 0x101
	v_add_nc_u32_e32 v0, v9, v0
	s_wait_loadcnt_dscnt 0x0
	v_sub_nc_u32_e32 v2, v4, v2
	v_add3_u32 v1, v7, v1, 0xc0
	v_sub_nc_u32_e32 v7, v8, v9
	v_sub_nc_u32_e32 v8, v8, v0
	s_delay_alu instid0(VALU_DEP_3) | instskip(NEXT) | instid1(VALU_DEP_1)
	v_ashrrev_i32_e32 v10, 31, v1
	v_lshrrev_b32_e32 v10, 29, v10
	s_delay_alu instid0(VALU_DEP_1) | instskip(NEXT) | instid1(VALU_DEP_1)
	v_add_nc_u32_e32 v10, v1, v10
	v_and_b32_e32 v10, -8, v10
	s_delay_alu instid0(VALU_DEP_1) | instskip(SKIP_1) | instid1(VALU_DEP_2)
	v_sub_nc_u32_e32 v12, v1, v10
	v_sub_nc_u32_e32 v1, v1, v6
	v_xor_b32_e32 v7, v12, v7
	s_delay_alu instid0(VALU_DEP_2) | instskip(NEXT) | instid1(VALU_DEP_2)
	v_lshlrev_b32_e32 v1, 7, v1
	v_sub_nc_u32_e32 v6, v7, v5
	s_delay_alu instid0(VALU_DEP_2) | instskip(NEXT) | instid1(VALU_DEP_2)
	v_add_nc_u32_e32 v2, v2, v1
	v_lshlrev_b32_e32 v6, 4, v6
	s_delay_alu instid0(VALU_DEP_1)
	v_add3_u32 v10, v1, v4, v6
	flat_load_b64 v[6:7], v[54:55] offset:16
	v_ashrrev_i32_e32 v11, 31, v10
	s_wait_loadcnt_dscnt 0x0
	v_add_co_u32 v10, vcc_lo, v6, v10
	s_wait_alu 0xfffd
	s_delay_alu instid0(VALU_DEP_2) | instskip(SKIP_2) | instid1(VALU_DEP_1)
	v_add_co_ci_u32_e64 v11, null, v7, v11, vcc_lo
	flat_load_b128 v[98:101], v[10:11]
	v_add_nc_u32_e32 v10, 16, v3
	v_ashrrev_i32_e32 v11, 31, v10
	s_delay_alu instid0(VALU_DEP_1) | instskip(NEXT) | instid1(VALU_DEP_1)
	v_lshrrev_b32_e32 v11, 28, v11
	v_add_nc_u32_e32 v11, v10, v11
	s_delay_alu instid0(VALU_DEP_1) | instskip(SKIP_1) | instid1(VALU_DEP_2)
	v_lshrrev_b32_e32 v13, 4, v11
	v_and_b32_e32 v11, -16, v11
	v_add_nc_u32_e32 v0, v13, v8
	s_delay_alu instid0(VALU_DEP_2) | instskip(NEXT) | instid1(VALU_DEP_2)
	v_sub_nc_u32_e32 v10, v10, v11
	v_xor_b32_e32 v0, v0, v12
	s_delay_alu instid0(VALU_DEP_1) | instskip(NEXT) | instid1(VALU_DEP_1)
	v_sub_nc_u32_e32 v0, v0, v5
	v_lshlrev_b32_e32 v0, 4, v0
	s_delay_alu instid0(VALU_DEP_1) | instskip(NEXT) | instid1(VALU_DEP_1)
	v_add3_u32 v0, v10, v2, v0
	v_ashrrev_i32_e32 v1, 31, v0
	v_add_co_u32 v0, vcc_lo, v6, v0
	s_wait_alu 0xfffd
	s_delay_alu instid0(VALU_DEP_2) | instskip(SKIP_2) | instid1(VALU_DEP_1)
	v_add_co_ci_u32_e64 v1, null, v7, v1, vcc_lo
	flat_load_b128 v[112:115], v[0:1]
	v_add_nc_u32_e32 v0, 64, v3
	v_ashrrev_i32_e32 v1, 31, v0
	s_delay_alu instid0(VALU_DEP_1) | instskip(NEXT) | instid1(VALU_DEP_1)
	v_lshrrev_b32_e32 v1, 28, v1
	v_add_nc_u32_e32 v1, v0, v1
	s_delay_alu instid0(VALU_DEP_1) | instskip(SKIP_1) | instid1(VALU_DEP_1)
	v_lshrrev_b32_e32 v4, 4, v1
	v_and_b32_e32 v1, -16, v1
	v_sub_nc_u32_e32 v0, v0, v1
	s_delay_alu instid0(VALU_DEP_3) | instskip(NEXT) | instid1(VALU_DEP_1)
	v_add_nc_u32_e32 v1, v4, v8
	v_xor_b32_e32 v1, v1, v12
	s_delay_alu instid0(VALU_DEP_1) | instskip(NEXT) | instid1(VALU_DEP_1)
	v_sub_nc_u32_e32 v1, v1, v5
	v_lshlrev_b32_e32 v1, 4, v1
	s_delay_alu instid0(VALU_DEP_1) | instskip(NEXT) | instid1(VALU_DEP_1)
	v_add3_u32 v0, v0, v2, v1
	v_ashrrev_i32_e32 v1, 31, v0
	v_add_co_u32 v0, vcc_lo, v6, v0
	s_wait_alu 0xfffd
	s_delay_alu instid0(VALU_DEP_2) | instskip(SKIP_2) | instid1(VALU_DEP_1)
	v_add_co_ci_u32_e64 v1, null, v7, v1, vcc_lo
	flat_load_b128 v[116:119], v[0:1]
	v_add_nc_u32_e32 v0, 0x50, v3
	v_ashrrev_i32_e32 v1, 31, v0
	s_delay_alu instid0(VALU_DEP_1) | instskip(NEXT) | instid1(VALU_DEP_1)
	v_lshrrev_b32_e32 v1, 28, v1
	v_add_nc_u32_e32 v1, v0, v1
	s_delay_alu instid0(VALU_DEP_1) | instskip(SKIP_1) | instid1(VALU_DEP_1)
	v_lshrrev_b32_e32 v3, 4, v1
	v_and_b32_e32 v1, -16, v1
	v_sub_nc_u32_e32 v0, v0, v1
	s_delay_alu instid0(VALU_DEP_3) | instskip(SKIP_1) | instid1(VALU_DEP_2)
	v_add_nc_u32_e32 v1, v3, v8
	v_mov_b32_e32 v3, s15
	v_xor_b32_e32 v1, v1, v12
	s_delay_alu instid0(VALU_DEP_1) | instskip(NEXT) | instid1(VALU_DEP_1)
	v_sub_nc_u32_e32 v1, v1, v5
	v_lshlrev_b32_e32 v1, 4, v1
	s_delay_alu instid0(VALU_DEP_1) | instskip(SKIP_1) | instid1(VALU_DEP_2)
	v_add3_u32 v0, v0, v2, v1
	v_mov_b32_e32 v2, s14
	v_ashrrev_i32_e32 v1, 31, v0
	v_add_co_u32 v0, vcc_lo, v6, v0
	s_wait_alu 0xfffd
	s_delay_alu instid0(VALU_DEP_2)
	v_add_co_ci_u32_e64 v1, null, v7, v1, vcc_lo
	flat_load_b128 v[128:131], v[0:1]
	v_dual_mov_b32 v0, s12 :: v_dual_mov_b32 v1, s13
	s_wait_alu 0xfffe
	s_swappc_b64 s[30:31], s[0:1]
	; sched_group_barrier mask(0x00000008) size(8) SyncID(0)
	; sched_group_barrier mask(0x00000100) size(1) SyncID(0)
	;; [unrolled: 1-line block ×8, first 2 shown]
	; sched_barrier mask(0x00000000)
	scratch_load_b128 v[8:11], off, s33 offset:768
	s_clause 0x1
	flat_load_b128 v[4:7], v[52:53] offset:784
	flat_load_b128 v[0:3], v[52:53] offset:768
	s_clause 0x6
	scratch_load_b128 v[12:15], off, s33 offset:784
	scratch_load_b128 v[16:19], off, s33 offset:832
	;; [unrolled: 1-line block ×7, first 2 shown]
	s_wait_loadcnt_dscnt 0x700
	v_wmma_f32_16x16x16_fp8_fp8 v[0:7], v[98:99], v[8:9], v[0:7]
	s_delay_alu instid0(VALU_DEP_1) | instskip(SKIP_3) | instid1(VALU_DEP_1)
	v_wmma_f32_16x16x16_fp8_fp8 v[0:7], v[100:101], v[10:11], v[0:7]
	flat_load_b128 v[8:11], v[52:53] offset:800
	s_wait_loadcnt 0x7
	v_wmma_f32_16x16x16_fp8_fp8 v[0:7], v[112:113], v[12:13], v[0:7]
	v_wmma_f32_16x16x16_fp8_fp8 v[0:7], v[114:115], v[14:15], v[0:7]
	flat_load_b128 v[12:15], v[52:53] offset:816
	s_wait_loadcnt_dscnt 0x0
	v_wmma_f32_16x16x16_fp8_fp8 v[8:15], v[98:99], v[16:17], v[8:15]
	s_delay_alu instid0(VALU_DEP_1) | instskip(SKIP_2) | instid1(VALU_DEP_1)
	v_wmma_f32_16x16x16_fp8_fp8 v[8:15], v[100:101], v[18:19], v[8:15]
	flat_load_b128 v[16:19], v[52:53] offset:832
	v_wmma_f32_16x16x16_fp8_fp8 v[8:15], v[112:113], v[20:21], v[8:15]
	v_wmma_f32_16x16x16_fp8_fp8 v[8:15], v[114:115], v[22:23], v[8:15]
	flat_load_b128 v[20:23], v[52:53] offset:848
	s_wait_loadcnt_dscnt 0x0
	v_wmma_f32_16x16x16_fp8_fp8 v[16:23], v[98:99], v[24:25], v[16:23]
	s_delay_alu instid0(VALU_DEP_1) | instskip(SKIP_2) | instid1(VALU_DEP_1)
	v_wmma_f32_16x16x16_fp8_fp8 v[16:23], v[100:101], v[26:27], v[16:23]
	flat_load_b128 v[24:27], v[52:53] offset:864
	v_wmma_f32_16x16x16_fp8_fp8 v[16:23], v[112:113], v[28:29], v[16:23]
	v_wmma_f32_16x16x16_fp8_fp8 v[16:23], v[114:115], v[30:31], v[16:23]
	flat_load_b128 v[28:31], v[52:53] offset:880
	s_wait_loadcnt_dscnt 0x0
	v_wmma_f32_16x16x16_fp8_fp8 v[24:31], v[98:99], v[32:33], v[24:31]
	s_delay_alu instid0(VALU_DEP_1) | instskip(SKIP_2) | instid1(VALU_DEP_1)
	v_wmma_f32_16x16x16_fp8_fp8 v[24:31], v[100:101], v[34:35], v[24:31]
	scratch_load_b128 v[32:35], off, s33 offset:800
	v_wmma_f32_16x16x16_fp8_fp8 v[24:31], v[112:113], v[36:37], v[24:31]
	v_wmma_f32_16x16x16_fp8_fp8 v[24:31], v[114:115], v[38:39], v[24:31]
	scratch_load_b128 v[36:39], off, s33 offset:816
	s_wait_loadcnt 0x1
	v_wmma_f32_16x16x16_fp8_fp8 v[0:7], v[116:117], v[32:33], v[0:7]
	s_delay_alu instid0(VALU_DEP_1) | instskip(SKIP_1) | instid1(VALU_DEP_1)
	v_wmma_f32_16x16x16_fp8_fp8 v[0:7], v[118:119], v[34:35], v[0:7]
	s_wait_loadcnt 0x0
	v_wmma_f32_16x16x16_fp8_fp8 v[0:7], v[128:129], v[36:37], v[0:7]
	s_delay_alu instid0(VALU_DEP_1)
	v_wmma_f32_16x16x16_fp8_fp8 v[0:7], v[130:131], v[38:39], v[0:7]
	flat_store_b128 v[52:53], v[0:3] offset:768
	scratch_load_b128 v[0:3], off, s33 offset:864
	flat_store_b128 v[52:53], v[4:7] offset:784
	scratch_load_b128 v[4:7], off, s33 offset:880
	s_wait_loadcnt 0x1
	v_nop
	v_wmma_f32_16x16x16_fp8_fp8 v[8:15], v[116:117], v[0:1], v[8:15]
	s_delay_alu instid0(VALU_DEP_1) | instskip(SKIP_3) | instid1(VALU_DEP_1)
	v_wmma_f32_16x16x16_fp8_fp8 v[8:15], v[118:119], v[2:3], v[8:15]
	scratch_load_b128 v[0:3], off, s33 offset:928
	s_wait_loadcnt 0x1
	v_wmma_f32_16x16x16_fp8_fp8 v[8:15], v[128:129], v[4:5], v[8:15]
	v_wmma_f32_16x16x16_fp8_fp8 v[8:15], v[130:131], v[6:7], v[8:15]
	scratch_load_b128 v[4:7], off, s33 offset:944
	s_clause 0x1
	flat_store_b128 v[52:53], v[12:15] offset:816
	flat_store_b128 v[52:53], v[8:11] offset:800
	s_wait_loadcnt 0x1
	v_wmma_f32_16x16x16_fp8_fp8 v[16:23], v[116:117], v[0:1], v[16:23]
	s_delay_alu instid0(VALU_DEP_1) | instskip(SKIP_3) | instid1(VALU_DEP_1)
	v_wmma_f32_16x16x16_fp8_fp8 v[16:23], v[118:119], v[2:3], v[16:23]
	scratch_load_b128 v[0:3], off, s33 offset:992
	s_wait_loadcnt 0x1
	v_wmma_f32_16x16x16_fp8_fp8 v[16:23], v[128:129], v[4:5], v[16:23]
	v_wmma_f32_16x16x16_fp8_fp8 v[16:23], v[130:131], v[6:7], v[16:23]
	scratch_load_b128 v[4:7], off, s33 offset:1008
	s_clause 0x1
	flat_store_b128 v[52:53], v[20:23] offset:848
	flat_store_b128 v[52:53], v[16:19] offset:832
	s_wait_loadcnt 0x1
	v_wmma_f32_16x16x16_fp8_fp8 v[24:31], v[116:117], v[0:1], v[24:31]
	s_delay_alu instid0(VALU_DEP_1) | instskip(SKIP_1) | instid1(VALU_DEP_1)
	v_wmma_f32_16x16x16_fp8_fp8 v[24:31], v[118:119], v[2:3], v[24:31]
	s_wait_loadcnt 0x0
	v_wmma_f32_16x16x16_fp8_fp8 v[24:31], v[128:129], v[4:5], v[24:31]
	s_delay_alu instid0(VALU_DEP_1)
	v_wmma_f32_16x16x16_fp8_fp8 v[24:31], v[130:131], v[6:7], v[24:31]
	s_clause 0x1
	flat_store_b128 v[52:53], v[28:31] offset:880
	flat_store_b128 v[52:53], v[24:27] offset:864
	s_clause 0x3
	flat_load_b64 v[7:8], v[64:65] offset:1148
	flat_load_b64 v[9:10], v[64:65] offset:1164
	flat_load_b128 v[0:3], v[64:65] offset:1176
	flat_load_b96 v[4:6], v[64:65] offset:1132
	s_wait_loadcnt_dscnt 0x202
	v_sub_nc_u32_e32 v7, v7, v10
	s_wait_loadcnt_dscnt 0x101
	v_add_nc_u32_e32 v0, v9, v0
	s_wait_loadcnt_dscnt 0x0
	v_sub_nc_u32_e32 v2, v4, v2
	v_add3_u32 v1, v7, v1, 0xe0
	v_sub_nc_u32_e32 v7, v8, v9
	v_sub_nc_u32_e32 v8, v8, v0
	s_delay_alu instid0(VALU_DEP_3) | instskip(NEXT) | instid1(VALU_DEP_1)
	v_ashrrev_i32_e32 v10, 31, v1
	v_lshrrev_b32_e32 v10, 29, v10
	s_delay_alu instid0(VALU_DEP_1) | instskip(NEXT) | instid1(VALU_DEP_1)
	v_add_nc_u32_e32 v10, v1, v10
	v_and_b32_e32 v10, -8, v10
	s_delay_alu instid0(VALU_DEP_1) | instskip(SKIP_1) | instid1(VALU_DEP_2)
	v_sub_nc_u32_e32 v12, v1, v10
	v_sub_nc_u32_e32 v1, v1, v6
	v_xor_b32_e32 v7, v12, v7
	s_delay_alu instid0(VALU_DEP_2) | instskip(NEXT) | instid1(VALU_DEP_2)
	v_lshlrev_b32_e32 v1, 7, v1
	v_sub_nc_u32_e32 v6, v7, v5
	s_delay_alu instid0(VALU_DEP_2) | instskip(NEXT) | instid1(VALU_DEP_2)
	v_add_nc_u32_e32 v2, v2, v1
	v_lshlrev_b32_e32 v6, 4, v6
	s_delay_alu instid0(VALU_DEP_1)
	v_add3_u32 v10, v1, v4, v6
	flat_load_b64 v[6:7], v[54:55] offset:16
	v_ashrrev_i32_e32 v11, 31, v10
	s_wait_loadcnt_dscnt 0x0
	v_add_co_u32 v10, vcc_lo, v6, v10
	s_wait_alu 0xfffd
	s_delay_alu instid0(VALU_DEP_2) | instskip(SKIP_2) | instid1(VALU_DEP_1)
	v_add_co_ci_u32_e64 v11, null, v7, v11, vcc_lo
	flat_load_b128 v[98:101], v[10:11]
	v_add_nc_u32_e32 v10, 16, v3
	v_ashrrev_i32_e32 v11, 31, v10
	s_delay_alu instid0(VALU_DEP_1) | instskip(NEXT) | instid1(VALU_DEP_1)
	v_lshrrev_b32_e32 v11, 28, v11
	v_add_nc_u32_e32 v11, v10, v11
	s_delay_alu instid0(VALU_DEP_1) | instskip(SKIP_1) | instid1(VALU_DEP_2)
	v_lshrrev_b32_e32 v13, 4, v11
	v_and_b32_e32 v11, -16, v11
	v_add_nc_u32_e32 v0, v13, v8
	s_delay_alu instid0(VALU_DEP_2) | instskip(NEXT) | instid1(VALU_DEP_2)
	v_sub_nc_u32_e32 v10, v10, v11
	v_xor_b32_e32 v0, v0, v12
	s_delay_alu instid0(VALU_DEP_1) | instskip(NEXT) | instid1(VALU_DEP_1)
	v_sub_nc_u32_e32 v0, v0, v5
	v_lshlrev_b32_e32 v0, 4, v0
	s_delay_alu instid0(VALU_DEP_1) | instskip(NEXT) | instid1(VALU_DEP_1)
	v_add3_u32 v0, v10, v2, v0
	v_ashrrev_i32_e32 v1, 31, v0
	v_add_co_u32 v0, vcc_lo, v6, v0
	s_wait_alu 0xfffd
	s_delay_alu instid0(VALU_DEP_2) | instskip(SKIP_2) | instid1(VALU_DEP_1)
	v_add_co_ci_u32_e64 v1, null, v7, v1, vcc_lo
	flat_load_b128 v[112:115], v[0:1]
	v_add_nc_u32_e32 v0, 64, v3
	v_ashrrev_i32_e32 v1, 31, v0
	s_delay_alu instid0(VALU_DEP_1) | instskip(NEXT) | instid1(VALU_DEP_1)
	v_lshrrev_b32_e32 v1, 28, v1
	v_add_nc_u32_e32 v1, v0, v1
	s_delay_alu instid0(VALU_DEP_1) | instskip(SKIP_1) | instid1(VALU_DEP_1)
	v_lshrrev_b32_e32 v4, 4, v1
	v_and_b32_e32 v1, -16, v1
	v_sub_nc_u32_e32 v0, v0, v1
	s_delay_alu instid0(VALU_DEP_3) | instskip(NEXT) | instid1(VALU_DEP_1)
	v_add_nc_u32_e32 v1, v4, v8
	v_xor_b32_e32 v1, v1, v12
	s_delay_alu instid0(VALU_DEP_1) | instskip(NEXT) | instid1(VALU_DEP_1)
	v_sub_nc_u32_e32 v1, v1, v5
	v_lshlrev_b32_e32 v1, 4, v1
	s_delay_alu instid0(VALU_DEP_1) | instskip(NEXT) | instid1(VALU_DEP_1)
	v_add3_u32 v0, v0, v2, v1
	v_ashrrev_i32_e32 v1, 31, v0
	v_add_co_u32 v0, vcc_lo, v6, v0
	s_wait_alu 0xfffd
	s_delay_alu instid0(VALU_DEP_2) | instskip(SKIP_2) | instid1(VALU_DEP_1)
	v_add_co_ci_u32_e64 v1, null, v7, v1, vcc_lo
	flat_load_b128 v[116:119], v[0:1]
	v_add_nc_u32_e32 v0, 0x50, v3
	v_ashrrev_i32_e32 v1, 31, v0
	s_delay_alu instid0(VALU_DEP_1) | instskip(NEXT) | instid1(VALU_DEP_1)
	v_lshrrev_b32_e32 v1, 28, v1
	v_add_nc_u32_e32 v1, v0, v1
	s_delay_alu instid0(VALU_DEP_1) | instskip(SKIP_1) | instid1(VALU_DEP_1)
	v_lshrrev_b32_e32 v3, 4, v1
	v_and_b32_e32 v1, -16, v1
	v_sub_nc_u32_e32 v0, v0, v1
	s_delay_alu instid0(VALU_DEP_3) | instskip(SKIP_1) | instid1(VALU_DEP_2)
	v_add_nc_u32_e32 v1, v3, v8
	v_mov_b32_e32 v3, s15
	v_xor_b32_e32 v1, v1, v12
	s_delay_alu instid0(VALU_DEP_1) | instskip(NEXT) | instid1(VALU_DEP_1)
	v_sub_nc_u32_e32 v1, v1, v5
	v_lshlrev_b32_e32 v1, 4, v1
	s_delay_alu instid0(VALU_DEP_1) | instskip(SKIP_1) | instid1(VALU_DEP_2)
	v_add3_u32 v0, v0, v2, v1
	v_mov_b32_e32 v2, s14
	v_ashrrev_i32_e32 v1, 31, v0
	v_add_co_u32 v0, vcc_lo, v6, v0
	s_wait_alu 0xfffd
	s_delay_alu instid0(VALU_DEP_2)
	v_add_co_ci_u32_e64 v1, null, v7, v1, vcc_lo
	flat_load_b128 v[128:131], v[0:1]
	v_dual_mov_b32 v0, s12 :: v_dual_mov_b32 v1, s13
	s_wait_alu 0xfffe
	s_swappc_b64 s[30:31], s[0:1]
	; sched_group_barrier mask(0x00000008) size(8) SyncID(0)
	; sched_group_barrier mask(0x00000100) size(1) SyncID(0)
	;; [unrolled: 1-line block ×8, first 2 shown]
	; sched_barrier mask(0x00000000)
	scratch_load_b128 v[8:11], off, s33 offset:768
	s_clause 0x1
	flat_load_b128 v[4:7], v[52:53] offset:912
	flat_load_b128 v[0:3], v[52:53] offset:896
	s_clause 0x6
	scratch_load_b128 v[12:15], off, s33 offset:784
	scratch_load_b128 v[16:19], off, s33 offset:832
	;; [unrolled: 1-line block ×7, first 2 shown]
	s_add_co_i32 s3, s33, 0x200
	s_wait_loadcnt_dscnt 0x700
	v_wmma_f32_16x16x16_fp8_fp8 v[0:7], v[98:99], v[8:9], v[0:7]
	s_delay_alu instid0(VALU_DEP_1) | instskip(SKIP_3) | instid1(VALU_DEP_1)
	v_wmma_f32_16x16x16_fp8_fp8 v[0:7], v[100:101], v[10:11], v[0:7]
	flat_load_b128 v[8:11], v[52:53] offset:928
	s_wait_loadcnt 0x7
	v_wmma_f32_16x16x16_fp8_fp8 v[0:7], v[112:113], v[12:13], v[0:7]
	v_wmma_f32_16x16x16_fp8_fp8 v[0:7], v[114:115], v[14:15], v[0:7]
	flat_load_b128 v[12:15], v[52:53] offset:944
	s_wait_loadcnt_dscnt 0x0
	v_wmma_f32_16x16x16_fp8_fp8 v[8:15], v[98:99], v[16:17], v[8:15]
	s_delay_alu instid0(VALU_DEP_1) | instskip(SKIP_2) | instid1(VALU_DEP_1)
	v_wmma_f32_16x16x16_fp8_fp8 v[8:15], v[100:101], v[18:19], v[8:15]
	flat_load_b128 v[16:19], v[52:53] offset:960
	v_wmma_f32_16x16x16_fp8_fp8 v[8:15], v[112:113], v[20:21], v[8:15]
	v_wmma_f32_16x16x16_fp8_fp8 v[8:15], v[114:115], v[22:23], v[8:15]
	flat_load_b128 v[20:23], v[52:53] offset:976
	s_wait_loadcnt_dscnt 0x0
	v_wmma_f32_16x16x16_fp8_fp8 v[16:23], v[98:99], v[24:25], v[16:23]
	s_delay_alu instid0(VALU_DEP_1) | instskip(SKIP_2) | instid1(VALU_DEP_1)
	v_wmma_f32_16x16x16_fp8_fp8 v[16:23], v[100:101], v[26:27], v[16:23]
	flat_load_b128 v[24:27], v[52:53] offset:992
	v_wmma_f32_16x16x16_fp8_fp8 v[16:23], v[112:113], v[28:29], v[16:23]
	v_wmma_f32_16x16x16_fp8_fp8 v[16:23], v[114:115], v[30:31], v[16:23]
	flat_load_b128 v[28:31], v[52:53] offset:1008
	s_wait_loadcnt_dscnt 0x0
	v_wmma_f32_16x16x16_fp8_fp8 v[24:31], v[98:99], v[32:33], v[24:31]
	s_delay_alu instid0(VALU_DEP_1) | instskip(SKIP_2) | instid1(VALU_DEP_1)
	v_wmma_f32_16x16x16_fp8_fp8 v[24:31], v[100:101], v[34:35], v[24:31]
	scratch_load_b128 v[32:35], off, s33 offset:800
	v_wmma_f32_16x16x16_fp8_fp8 v[24:31], v[112:113], v[36:37], v[24:31]
	v_wmma_f32_16x16x16_fp8_fp8 v[24:31], v[114:115], v[38:39], v[24:31]
	scratch_load_b128 v[36:39], off, s33 offset:816
	s_wait_loadcnt 0x1
	v_wmma_f32_16x16x16_fp8_fp8 v[0:7], v[116:117], v[32:33], v[0:7]
	s_delay_alu instid0(VALU_DEP_1) | instskip(SKIP_1) | instid1(VALU_DEP_1)
	v_wmma_f32_16x16x16_fp8_fp8 v[0:7], v[118:119], v[34:35], v[0:7]
	s_wait_loadcnt 0x0
	v_wmma_f32_16x16x16_fp8_fp8 v[0:7], v[128:129], v[36:37], v[0:7]
	s_delay_alu instid0(VALU_DEP_1)
	v_wmma_f32_16x16x16_fp8_fp8 v[0:7], v[130:131], v[38:39], v[0:7]
	flat_store_b128 v[52:53], v[0:3] offset:896
	scratch_load_b128 v[0:3], off, s33 offset:864
	flat_store_b128 v[52:53], v[4:7] offset:912
	scratch_load_b128 v[4:7], off, s33 offset:880
	s_wait_loadcnt 0x1
	v_nop
	v_wmma_f32_16x16x16_fp8_fp8 v[8:15], v[116:117], v[0:1], v[8:15]
	s_delay_alu instid0(VALU_DEP_1) | instskip(SKIP_3) | instid1(VALU_DEP_1)
	v_wmma_f32_16x16x16_fp8_fp8 v[8:15], v[118:119], v[2:3], v[8:15]
	scratch_load_b128 v[0:3], off, s33 offset:928
	s_wait_loadcnt 0x1
	v_wmma_f32_16x16x16_fp8_fp8 v[8:15], v[128:129], v[4:5], v[8:15]
	v_wmma_f32_16x16x16_fp8_fp8 v[8:15], v[130:131], v[6:7], v[8:15]
	scratch_load_b128 v[4:7], off, s33 offset:944
	s_clause 0x1
	flat_store_b128 v[52:53], v[12:15] offset:944
	flat_store_b128 v[52:53], v[8:11] offset:928
	s_wait_loadcnt 0x1
	v_wmma_f32_16x16x16_fp8_fp8 v[16:23], v[116:117], v[0:1], v[16:23]
	s_delay_alu instid0(VALU_DEP_1) | instskip(SKIP_3) | instid1(VALU_DEP_1)
	v_wmma_f32_16x16x16_fp8_fp8 v[16:23], v[118:119], v[2:3], v[16:23]
	scratch_load_b128 v[0:3], off, s33 offset:992
	s_wait_loadcnt 0x1
	v_wmma_f32_16x16x16_fp8_fp8 v[16:23], v[128:129], v[4:5], v[16:23]
	v_wmma_f32_16x16x16_fp8_fp8 v[16:23], v[130:131], v[6:7], v[16:23]
	scratch_load_b128 v[4:7], off, s33 offset:1008
	s_clause 0x1
	flat_store_b128 v[52:53], v[20:23] offset:976
	flat_store_b128 v[52:53], v[16:19] offset:960
	s_wait_loadcnt 0x1
	v_wmma_f32_16x16x16_fp8_fp8 v[24:31], v[116:117], v[0:1], v[24:31]
	s_delay_alu instid0(VALU_DEP_1) | instskip(SKIP_1) | instid1(VALU_DEP_1)
	v_wmma_f32_16x16x16_fp8_fp8 v[24:31], v[118:119], v[2:3], v[24:31]
	s_wait_loadcnt 0x0
	v_wmma_f32_16x16x16_fp8_fp8 v[24:31], v[128:129], v[4:5], v[24:31]
	s_delay_alu instid0(VALU_DEP_1)
	v_wmma_f32_16x16x16_fp8_fp8 v[24:31], v[130:131], v[6:7], v[24:31]
	s_clause 0x1
	flat_store_b128 v[52:53], v[28:31] offset:1008
	flat_store_b128 v[52:53], v[24:27] offset:992
	s_wait_dscnt 0x0
	s_barrier_signal -1
	s_barrier_wait -1
	flat_load_b96 v[0:2], v[64:65] offset:1132
	flat_load_b64 v[3:4], v[54:55]
	s_clause 0x1
	flat_load_b64 v[7:8], v[64:65] offset:1184
	flat_load_b32 v9, v[64:65] offset:1176
	s_wait_loadcnt_dscnt 0x303
	v_ashrrev_i32_e32 v6, 31, v0
	s_wait_loadcnt_dscnt 0x202
	v_add_co_u32 v5, vcc_lo, v3, v0
	s_wait_loadcnt_dscnt 0x101
	v_add_nc_u32_e32 v10, 16, v8
	s_wait_alu 0xfffd
	v_add_co_ci_u32_e64 v6, null, v4, v6, vcc_lo
	s_delay_alu instid0(VALU_DEP_2) | instskip(SKIP_3) | instid1(VALU_DEP_1)
	v_ashrrev_i32_e32 v11, 31, v10
	flat_load_b128 v[116:119], v[5:6]
	flat_load_b64 v[5:6], v[64:65] offset:1148
	v_lshrrev_b32_e32 v11, 28, v11
	v_add_nc_u32_e32 v11, v10, v11
	s_delay_alu instid0(VALU_DEP_1) | instskip(SKIP_1) | instid1(VALU_DEP_1)
	v_lshrrev_b32_e32 v12, 4, v11
	v_and_b32_e32 v11, -16, v11
	v_sub_nc_u32_e32 v10, v10, v11
	s_wait_loadcnt_dscnt 0x0
	v_ashrrev_i32_e32 v11, 31, v5
	v_sub_nc_u32_e32 v9, v6, v9
	v_sub_nc_u32_e32 v2, v5, v2
	s_delay_alu instid0(VALU_DEP_3) | instskip(NEXT) | instid1(VALU_DEP_3)
	v_lshrrev_b32_e32 v11, 29, v11
	v_add_nc_u32_e32 v6, v12, v9
	s_delay_alu instid0(VALU_DEP_3) | instskip(NEXT) | instid1(VALU_DEP_3)
	v_lshl_add_u32 v0, v2, 7, v0
	v_add_nc_u32_e32 v11, v5, v11
	s_delay_alu instid0(VALU_DEP_2) | instskip(NEXT) | instid1(VALU_DEP_2)
	v_sub_nc_u32_e32 v0, v0, v7
	v_and_b32_e32 v11, -8, v11
	s_delay_alu instid0(VALU_DEP_1) | instskip(NEXT) | instid1(VALU_DEP_1)
	v_sub_nc_u32_e32 v11, v5, v11
	v_xor_b32_e32 v6, v6, v11
	s_delay_alu instid0(VALU_DEP_1) | instskip(NEXT) | instid1(VALU_DEP_1)
	v_sub_nc_u32_e32 v5, v6, v1
	v_lshlrev_b32_e32 v5, 4, v5
	s_delay_alu instid0(VALU_DEP_1) | instskip(NEXT) | instid1(VALU_DEP_1)
	v_add3_u32 v2, v10, v0, v5
	v_ashrrev_i32_e32 v6, 31, v2
	v_add_co_u32 v5, vcc_lo, v3, v2
	v_add_nc_u32_e32 v2, 64, v8
	s_wait_alu 0xfffd
	s_delay_alu instid0(VALU_DEP_3) | instskip(SKIP_2) | instid1(VALU_DEP_1)
	v_add_co_ci_u32_e64 v6, null, v4, v6, vcc_lo
	flat_load_b128 v[128:131], v[5:6]
	v_ashrrev_i32_e32 v5, 31, v2
	v_lshrrev_b32_e32 v5, 28, v5
	s_delay_alu instid0(VALU_DEP_1) | instskip(NEXT) | instid1(VALU_DEP_1)
	v_add_nc_u32_e32 v5, v2, v5
	v_lshrrev_b32_e32 v6, 4, v5
	v_and_b32_e32 v5, -16, v5
	s_delay_alu instid0(VALU_DEP_1) | instskip(NEXT) | instid1(VALU_DEP_3)
	v_sub_nc_u32_e32 v2, v2, v5
	v_add_nc_u32_e32 v5, v6, v9
	s_delay_alu instid0(VALU_DEP_1) | instskip(NEXT) | instid1(VALU_DEP_1)
	v_xor_b32_e32 v5, v5, v11
	v_sub_nc_u32_e32 v5, v5, v1
	s_delay_alu instid0(VALU_DEP_1) | instskip(NEXT) | instid1(VALU_DEP_1)
	v_lshlrev_b32_e32 v5, 4, v5
	v_add3_u32 v2, v2, v0, v5
	s_delay_alu instid0(VALU_DEP_1) | instskip(SKIP_3) | instid1(VALU_DEP_3)
	v_ashrrev_i32_e32 v6, 31, v2
	v_add_co_u32 v5, vcc_lo, v3, v2
	v_add_nc_u32_e32 v2, 0x50, v8
	s_wait_alu 0xfffd
	v_add_co_ci_u32_e64 v6, null, v4, v6, vcc_lo
	flat_load_b128 v[98:101], v[5:6]
	v_ashrrev_i32_e32 v5, 31, v2
	s_delay_alu instid0(VALU_DEP_1) | instskip(NEXT) | instid1(VALU_DEP_1)
	v_lshrrev_b32_e32 v5, 28, v5
	v_add_nc_u32_e32 v5, v2, v5
	s_delay_alu instid0(VALU_DEP_1) | instskip(SKIP_1) | instid1(VALU_DEP_1)
	v_lshrrev_b32_e32 v6, 4, v5
	v_and_b32_e32 v5, -16, v5
	v_sub_nc_u32_e32 v2, v2, v5
	s_delay_alu instid0(VALU_DEP_3) | instskip(NEXT) | instid1(VALU_DEP_1)
	v_add_nc_u32_e32 v5, v6, v9
	v_xor_b32_e32 v5, v5, v11
	s_delay_alu instid0(VALU_DEP_1) | instskip(NEXT) | instid1(VALU_DEP_1)
	v_sub_nc_u32_e32 v1, v5, v1
	v_lshlrev_b32_e32 v1, 4, v1
	s_delay_alu instid0(VALU_DEP_1) | instskip(SKIP_2) | instid1(VALU_DEP_2)
	v_add3_u32 v0, v2, v0, v1
	s_wait_alu 0xfffe
	v_mov_b32_e32 v2, s3
	v_ashrrev_i32_e32 v1, 31, v0
	v_add_co_u32 v0, vcc_lo, v3, v0
	v_mov_b32_e32 v3, s13
	s_wait_alu 0xfffd
	s_delay_alu instid0(VALU_DEP_3)
	v_add_co_ci_u32_e64 v1, null, v4, v1, vcc_lo
	flat_load_b128 v[112:115], v[0:1]
	v_dual_mov_b32 v0, s33 :: v_dual_mov_b32 v1, s13
	s_swappc_b64 s[30:31], s[0:1]
	; sched_group_barrier mask(0x00000008) size(8) SyncID(0)
	; sched_group_barrier mask(0x00000100) size(1) SyncID(0)
	;; [unrolled: 1-line block ×8, first 2 shown]
	; sched_barrier mask(0x00000000)
	s_add_co_i32 s2, s2, 2
	s_wait_alu 0xfffe
	v_cmp_ge_i32_e32 vcc_lo, s2, v134
	s_or_b32 s4, vcc_lo, s4
	s_wait_alu 0xfffe
	s_and_not1_b32 exec_lo, exec_lo, s4
	s_cbranch_execz .LBB8_144
.LBB8_64:                               ; =>This Loop Header: Depth=1
                                        ;     Child Loop BB8_65 Depth 2
                                        ;     Child Loop BB8_67 Depth 2
	;; [unrolled: 1-line block ×32, first 2 shown]
	flat_load_b128 v[0:3], v[68:69]
	s_clause 0x1
	flat_load_b128 v[4:7], v[80:81]
	flat_load_b64 v[12:13], v[80:81]
	s_mov_b32 s1, exec_lo
	s_wait_loadcnt_dscnt 0x202
	v_lshrrev_b32_e32 v8, 31, v0
	s_wait_loadcnt_dscnt 0x101
	v_lshrrev_b32_e32 v9, 31, v7
	s_wait_loadcnt_dscnt 0x0
	v_and_b32_e32 v13, 0xffff, v13
	v_add_nc_u32_e32 v8, v0, v8
	s_delay_alu instid0(VALU_DEP_3) | instskip(SKIP_2) | instid1(VALU_DEP_3)
	v_add_co_u32 v6, vcc_lo, v6, v9
	s_wait_alu 0xfffd
	v_add_co_ci_u32_e64 v7, null, 0, v7, vcc_lo
	v_ashrrev_i32_e32 v10, 1, v8
	s_delay_alu instid0(VALU_DEP_2)
	v_alignbit_b32 v132, v7, v6, 1
.LBB8_65:                               ;   Parent Loop BB8_64 Depth=1
                                        ; =>  This Inner Loop Header: Depth=2
	v_readfirstlane_b32 s8, v12
	v_readfirstlane_b32 s9, v13
	s_delay_alu instid0(VALU_DEP_3) | instskip(SKIP_2) | instid1(VALU_DEP_3)
	v_readfirstlane_b32 s10, v132
	v_readfirstlane_b32 s11, v133
	s_wait_alu 0xf1ff
	v_cmp_eq_u64_e32 vcc_lo, s[8:9], v[12:13]
	s_delay_alu instid0(VALU_DEP_2)
	v_cmp_eq_u64_e64 s0, s[10:11], v[132:133]
	s_and_b32 s0, vcc_lo, s0
	s_wait_alu 0xfffe
	s_and_saveexec_b32 s0, s0
	s_wait_loadcnt 0x0
	buffer_load_b128 v[6:9], v10, s[8:11], null offen
                                        ; implicit-def: $vgpr10
	s_xor_b32 exec_lo, exec_lo, s0
	s_cbranch_execnz .LBB8_65
; %bb.66:                               ;   in Loop: Header=BB8_64 Depth=1
	s_mov_b32 exec_lo, s1
	v_add_nc_u32_e32 v14, 1, v1
	s_mov_b32 s1, exec_lo
	s_wait_loadcnt 0x0
	scratch_store_b128 off, v[6:9], s33 offset:256
	flat_store_b32 v[68:69], v14 offset:4
	flat_load_b32 v10, v[70:71] offset:16
	s_wait_loadcnt_dscnt 0x0
	v_add_nc_u32_e32 v10, v10, v0
	s_delay_alu instid0(VALU_DEP_1) | instskip(SKIP_2) | instid1(VALU_DEP_1)
	v_lshrrev_b32_e32 v0, 31, v10
	flat_store_b32 v[68:69], v10
	v_add_nc_u32_e32 v0, v10, v0
	v_ashrrev_i32_e32 v0, 1, v0
.LBB8_67:                               ;   Parent Loop BB8_64 Depth=1
                                        ; =>  This Inner Loop Header: Depth=2
	v_readfirstlane_b32 s8, v12
	v_readfirstlane_b32 s9, v13
	;; [unrolled: 1-line block ×4, first 2 shown]
	s_wait_alu 0xf1ff
	s_delay_alu instid0(VALU_DEP_3) | instskip(NEXT) | instid1(VALU_DEP_2)
	v_cmp_eq_u64_e32 vcc_lo, s[8:9], v[12:13]
	v_cmp_eq_u64_e64 s0, s[10:11], v[132:133]
	s_and_b32 s0, vcc_lo, s0
	s_wait_alu 0xfffe
	s_and_saveexec_b32 s0, s0
	s_wait_loadcnt 0x0
	buffer_load_b128 v[6:9], v0, s[8:11], null offen
                                        ; implicit-def: $vgpr0
	s_xor_b32 exec_lo, exec_lo, s0
	s_cbranch_execnz .LBB8_67
; %bb.68:                               ;   in Loop: Header=BB8_64 Depth=1
	s_mov_b32 exec_lo, s1
	v_add_nc_u32_e32 v0, 2, v1
	s_mov_b32 s1, exec_lo
	s_wait_loadcnt 0x0
	scratch_store_b128 off, v[6:9], s33 offset:320
	flat_store_b32 v[68:69], v0 offset:4
	flat_load_b32 v11, v[70:71] offset:16
	s_wait_loadcnt_dscnt 0x0
	v_add_nc_u32_e32 v10, v11, v10
	s_delay_alu instid0(VALU_DEP_1) | instskip(SKIP_2) | instid1(VALU_DEP_1)
	v_lshrrev_b32_e32 v11, 31, v10
	flat_store_b32 v[68:69], v10
	v_add_nc_u32_e32 v11, v10, v11
	v_ashrrev_i32_e32 v11, 1, v11
.LBB8_69:                               ;   Parent Loop BB8_64 Depth=1
                                        ; =>  This Inner Loop Header: Depth=2
	v_readfirstlane_b32 s8, v12
	v_readfirstlane_b32 s9, v13
	v_readfirstlane_b32 s10, v132
	v_readfirstlane_b32 s11, v133
	s_wait_alu 0xf1ff
	s_delay_alu instid0(VALU_DEP_3) | instskip(NEXT) | instid1(VALU_DEP_2)
	v_cmp_eq_u64_e32 vcc_lo, s[8:9], v[12:13]
	v_cmp_eq_u64_e64 s0, s[10:11], v[132:133]
	s_and_b32 s0, vcc_lo, s0
	s_wait_alu 0xfffe
	s_and_saveexec_b32 s0, s0
	s_wait_loadcnt 0x0
	buffer_load_b128 v[6:9], v11, s[8:11], null offen
                                        ; implicit-def: $vgpr11
	s_xor_b32 exec_lo, exec_lo, s0
	s_cbranch_execnz .LBB8_69
; %bb.70:                               ;   in Loop: Header=BB8_64 Depth=1
	s_mov_b32 exec_lo, s1
	v_add_nc_u32_e32 v11, 3, v1
	s_mov_b32 s1, exec_lo
	s_wait_loadcnt 0x0
	scratch_store_b128 off, v[6:9], s33 offset:384
	flat_store_b32 v[68:69], v11 offset:4
	flat_load_b32 v11, v[70:71] offset:16
	s_wait_loadcnt_dscnt 0x0
	v_add_nc_u32_e32 v10, v11, v10
	s_delay_alu instid0(VALU_DEP_1) | instskip(SKIP_2) | instid1(VALU_DEP_1)
	v_lshrrev_b32_e32 v11, 31, v10
	flat_store_b32 v[68:69], v10
	v_add_nc_u32_e32 v11, v10, v11
	v_ashrrev_i32_e32 v11, 1, v11
.LBB8_71:                               ;   Parent Loop BB8_64 Depth=1
                                        ; =>  This Inner Loop Header: Depth=2
	v_readfirstlane_b32 s8, v12
	v_readfirstlane_b32 s9, v13
	v_readfirstlane_b32 s10, v132
	v_readfirstlane_b32 s11, v133
	s_wait_alu 0xf1ff
	s_delay_alu instid0(VALU_DEP_3) | instskip(NEXT) | instid1(VALU_DEP_2)
	v_cmp_eq_u64_e32 vcc_lo, s[8:9], v[12:13]
	v_cmp_eq_u64_e64 s0, s[10:11], v[132:133]
	s_and_b32 s0, vcc_lo, s0
	s_wait_alu 0xfffe
	s_and_saveexec_b32 s0, s0
	s_wait_loadcnt 0x0
	buffer_load_b128 v[6:9], v11, s[8:11], null offen
                                        ; implicit-def: $vgpr11
	s_xor_b32 exec_lo, exec_lo, s0
	s_cbranch_execnz .LBB8_71
	;; [unrolled: 33-line block ×3, first 2 shown]
; %bb.74:                               ;   in Loop: Header=BB8_64 Depth=1
	s_mov_b32 exec_lo, s1
	flat_store_b32 v[68:69], v0 offset:4
	flat_load_b32 v0, v[70:71] offset:16
	s_mov_b32 s1, exec_lo
	s_wait_loadcnt 0x1
	scratch_store_b128 off, v[6:9], s33 offset:480
	s_wait_loadcnt_dscnt 0x0
	v_sub_nc_u32_e32 v0, v10, v0
	s_delay_alu instid0(VALU_DEP_1) | instskip(SKIP_2) | instid1(VALU_DEP_1)
	v_lshrrev_b32_e32 v10, 31, v0
	flat_store_b32 v[68:69], v0
	v_add_nc_u32_e32 v10, v0, v10
	v_ashrrev_i32_e32 v15, 1, v10
.LBB8_75:                               ;   Parent Loop BB8_64 Depth=1
                                        ; =>  This Inner Loop Header: Depth=2
	v_readfirstlane_b32 s8, v12
	v_readfirstlane_b32 s9, v13
	;; [unrolled: 1-line block ×4, first 2 shown]
	s_wait_alu 0xf1ff
	s_delay_alu instid0(VALU_DEP_3) | instskip(NEXT) | instid1(VALU_DEP_2)
	v_cmp_eq_u64_e32 vcc_lo, s[8:9], v[12:13]
	v_cmp_eq_u64_e64 s0, s[10:11], v[132:133]
	s_and_b32 s0, vcc_lo, s0
	s_wait_alu 0xfffe
	s_and_saveexec_b32 s0, s0
	s_wait_loadcnt 0x0
	buffer_load_b128 v[8:11], v15, s[8:11], null offen
                                        ; implicit-def: $vgpr15
                                        ; implicit-def: $vgpr12_vgpr13
	s_xor_b32 exec_lo, exec_lo, s0
	s_cbranch_execnz .LBB8_75
; %bb.76:                               ;   in Loop: Header=BB8_64 Depth=1
	s_mov_b32 exec_lo, s1
	flat_store_b32 v[68:69], v14 offset:4
	flat_load_b32 v12, v[70:71] offset:16
	flat_load_b64 v[6:7], v[80:81] offset:8
	v_and_b32_e32 v5, 0xffff, v5
	s_mov_b32 s1, exec_lo
	s_wait_loadcnt 0x2
	scratch_store_b128 off, v[8:11], s33 offset:416
	s_wait_loadcnt_dscnt 0x101
	v_sub_nc_u32_e32 v0, v0, v12
	s_wait_loadcnt_dscnt 0x0
	v_lshrrev_b32_e32 v12, 31, v7
	s_delay_alu instid0(VALU_DEP_2) | instskip(NEXT) | instid1(VALU_DEP_2)
	v_lshrrev_b32_e32 v13, 31, v0
	v_add_co_u32 v6, vcc_lo, v6, v12
	s_wait_alu 0xfffd
	v_add_co_ci_u32_e64 v7, null, 0, v7, vcc_lo
	s_delay_alu instid0(VALU_DEP_3)
	v_add_nc_u32_e32 v12, v0, v13
	flat_store_b32 v[68:69], v0
	v_alignbit_b32 v6, v7, v6, 1
	v_mov_b32_e32 v7, v133
	v_ashrrev_i32_e32 v12, 1, v12
.LBB8_77:                               ;   Parent Loop BB8_64 Depth=1
                                        ; =>  This Inner Loop Header: Depth=2
	v_readfirstlane_b32 s8, v4
	v_readfirstlane_b32 s9, v5
	;; [unrolled: 1-line block ×4, first 2 shown]
	s_wait_alu 0xf1ff
	s_delay_alu instid0(VALU_DEP_3) | instskip(NEXT) | instid1(VALU_DEP_2)
	v_cmp_eq_u64_e32 vcc_lo, s[8:9], v[4:5]
	v_cmp_eq_u64_e64 s0, s[10:11], v[6:7]
	s_and_b32 s0, vcc_lo, s0
	s_wait_alu 0xfffe
	s_and_saveexec_b32 s0, s0
	s_wait_loadcnt 0x0
	buffer_load_b128 v[8:11], v12, s[8:11], null offen
                                        ; implicit-def: $vgpr12
	s_xor_b32 exec_lo, exec_lo, s0
	s_cbranch_execnz .LBB8_77
; %bb.78:                               ;   in Loop: Header=BB8_64 Depth=1
	s_mov_b32 exec_lo, s1
	flat_store_b32 v[68:69], v1 offset:4
	flat_load_b32 v12, v[70:71] offset:16
	s_mov_b32 s1, exec_lo
	s_wait_loadcnt 0x1
	scratch_store_b128 off, v[8:11], s33 offset:352
	s_wait_loadcnt_dscnt 0x0
	v_sub_nc_u32_e32 v0, v0, v12
	s_delay_alu instid0(VALU_DEP_1) | instskip(SKIP_2) | instid1(VALU_DEP_1)
	v_lshrrev_b32_e32 v12, 31, v0
	flat_store_b32 v[68:69], v0
	v_add_nc_u32_e32 v12, v0, v12
	v_ashrrev_i32_e32 v12, 1, v12
.LBB8_79:                               ;   Parent Loop BB8_64 Depth=1
                                        ; =>  This Inner Loop Header: Depth=2
	v_readfirstlane_b32 s8, v4
	v_readfirstlane_b32 s9, v5
	;; [unrolled: 1-line block ×4, first 2 shown]
	s_wait_alu 0xf1ff
	s_delay_alu instid0(VALU_DEP_3) | instskip(NEXT) | instid1(VALU_DEP_2)
	v_cmp_eq_u64_e32 vcc_lo, s[8:9], v[4:5]
	v_cmp_eq_u64_e64 s0, s[10:11], v[6:7]
	s_and_b32 s0, vcc_lo, s0
	s_wait_alu 0xfffe
	s_and_saveexec_b32 s0, s0
	s_wait_loadcnt 0x0
	buffer_load_b128 v[8:11], v12, s[8:11], null offen
                                        ; implicit-def: $vgpr4_vgpr5_vgpr6_vgpr7
                                        ; implicit-def: $vgpr12
	s_xor_b32 exec_lo, exec_lo, s0
	s_cbranch_execnz .LBB8_79
; %bb.80:                               ;   in Loop: Header=BB8_64 Depth=1
	s_mov_b32 exec_lo, s1
	flat_store_b32 v[68:69], v3 offset:12
	flat_load_b32 v4, v[70:71] offset:24
	s_mov_b32 s0, exec_lo
	s_wait_loadcnt_dscnt 0x0
	v_sub_nc_u32_e32 v0, v0, v4
	flat_store_b32 v[68:69], v0
	flat_load_b128 v[4:7], v[82:83]
	flat_load_b32 v15, v[68:69] offset:16
	s_wait_loadcnt_dscnt 0x101
	v_or_b32_e32 v12, v5, v4
	v_add_nc_u32_e32 v13, v2, v5
	v_add_nc_u32_e32 v14, v6, v3
	s_wait_loadcnt_dscnt 0x0
	v_add_nc_u32_e32 v15, v15, v7
	v_or3_b32 v16, v12, v6, v7
	v_add_nc_u32_e32 v12, v4, v1
	scratch_store_b128 off, v[8:11], s33 offset:288
	flat_store_b128 v[68:69], v[12:15] offset:4
	v_cmpx_ne_u32_e32 0, v16
	s_cbranch_execz .LBB8_82
; %bb.81:                               ;   in Loop: Header=BB8_64 Depth=1
	flat_load_b96 v[1:3], v[70:71] offset:16
	s_wait_loadcnt_dscnt 0x0
	v_mul_lo_u32 v1, v1, v4
	v_mul_lo_u32 v2, v2, v5
	;; [unrolled: 1-line block ×3, first 2 shown]
	s_delay_alu instid0(VALU_DEP_3) | instskip(NEXT) | instid1(VALU_DEP_1)
	v_add3_u32 v0, v7, v0, v1
	v_add3_u32 v0, v0, v2, v3
	flat_store_b32 v[68:69], v0
.LBB8_82:                               ;   in Loop: Header=BB8_64 Depth=1
	s_wait_alu 0xfffe
	s_or_b32 exec_lo, exec_lo, s0
	scratch_load_b128 v[6:9], off, s33 offset:512
	flat_load_b128 v[0:3], v[52:53]
	s_clause 0x6
	scratch_load_b128 v[10:13], off, s33 offset:528
	scratch_load_b128 v[16:19], off, s33 offset:576
	;; [unrolled: 1-line block ×7, first 2 shown]
	s_getpc_b64 s[0:1]
	s_wait_alu 0xfffe
	s_sext_i32_i16 s1, s1
	s_add_co_u32 s0, s0, _ZNK2ck44ThreadwiseTensorSliceTransfer_StaticToStaticINS_7pk_i4_tENS_9f8_fnuz_tEKNS_16TensorDescriptorINS_5TupleIJNS_7UnMergeINS4_IJNS_17integral_constantIiLi4EEENS6_IiLi1EEENS6_IiLi2EEENS6_IiLi32EEEEEELb0EEEEEENS4_IJNS_8SequenceIJLi0EEEEEEENS4_IJNSE_IJLi1ELi2ELi3ELi4EEEEEEESH_NS6_IlLl256EEEEESL_NS_16tensor_operation12element_wise11PassThroughENSE_IJLi4ELi1ELi2ELi32EEEENSE_IJLi1ELi2ELi0ELi3EEEELi3ELi32ELb0EE3RunINS4_IJNS6_IiLi0EEEST_ST_ST_EEESU_NS_12StaticBufferILNS_16AddressSpaceEnumE4ES1_Li256ELb1EEENSV_ILSW_4ES2_Li256ELb1EEEEEvRSL_RKT_RKT1_SZ_RKT0_RT2_@rel32@lo+12
	s_wait_alu 0xfffe
	s_add_co_ci_u32 s1, s1, _ZNK2ck44ThreadwiseTensorSliceTransfer_StaticToStaticINS_7pk_i4_tENS_9f8_fnuz_tEKNS_16TensorDescriptorINS_5TupleIJNS_7UnMergeINS4_IJNS_17integral_constantIiLi4EEENS6_IiLi1EEENS6_IiLi2EEENS6_IiLi32EEEEEELb0EEEEEENS4_IJNS_8SequenceIJLi0EEEEEEENS4_IJNSE_IJLi1ELi2ELi3ELi4EEEEEEESH_NS6_IlLl256EEEEESL_NS_16tensor_operation12element_wise11PassThroughENSE_IJLi4ELi1ELi2ELi32EEEENSE_IJLi1ELi2ELi0ELi3EEEELi3ELi32ELb0EE3RunINS4_IJNS6_IiLi0EEEST_ST_ST_EEESU_NS_12StaticBufferILNS_16AddressSpaceEnumE4ES1_Li256ELb1EEENSV_ILSW_4ES2_Li256ELb1EEEEEvRSL_RKT_RKT1_SZ_RKT0_RT2_@rel32@hi+24
	s_add_co_i32 s3, s33, 0x200
	s_wait_loadcnt 0x8
	v_perm_b32 v15, v7, v7, 0x3020104
	v_perm_b32 v14, v6, v6, 0x3020504
	flat_load_b128 v[4:7], v[52:53] offset:16
	s_wait_loadcnt_dscnt 0x0
	v_wmma_f32_16x16x16_fp8_fp8 v[0:7], v[116:117], v[14:15], v[0:7]
	s_delay_alu instid0(VALU_DEP_1) | instskip(NEXT) | instid1(VALU_DEP_1)
	v_wmma_f32_16x16x16_fp8_fp8 v[0:7], v[118:119], v[8:9], v[0:7]
	v_wmma_f32_16x16x16_fp8_fp8 v[0:7], v[128:129], v[10:11], v[0:7]
	flat_load_b128 v[8:11], v[52:53] offset:32
	v_wmma_f32_16x16x16_fp8_fp8 v[0:7], v[130:131], v[12:13], v[0:7]
	flat_load_b128 v[12:15], v[52:53] offset:48
	s_wait_loadcnt_dscnt 0x0
	v_wmma_f32_16x16x16_fp8_fp8 v[8:15], v[116:117], v[16:17], v[8:15]
	s_delay_alu instid0(VALU_DEP_1) | instskip(SKIP_2) | instid1(VALU_DEP_1)
	v_wmma_f32_16x16x16_fp8_fp8 v[8:15], v[118:119], v[18:19], v[8:15]
	flat_load_b128 v[16:19], v[52:53] offset:64
	v_wmma_f32_16x16x16_fp8_fp8 v[8:15], v[128:129], v[20:21], v[8:15]
	v_wmma_f32_16x16x16_fp8_fp8 v[8:15], v[130:131], v[22:23], v[8:15]
	flat_load_b128 v[20:23], v[52:53] offset:80
	s_wait_loadcnt_dscnt 0x0
	v_wmma_f32_16x16x16_fp8_fp8 v[16:23], v[116:117], v[24:25], v[16:23]
	s_delay_alu instid0(VALU_DEP_1) | instskip(SKIP_2) | instid1(VALU_DEP_1)
	v_wmma_f32_16x16x16_fp8_fp8 v[16:23], v[118:119], v[26:27], v[16:23]
	flat_load_b128 v[24:27], v[52:53] offset:96
	v_wmma_f32_16x16x16_fp8_fp8 v[16:23], v[128:129], v[28:29], v[16:23]
	v_wmma_f32_16x16x16_fp8_fp8 v[16:23], v[130:131], v[30:31], v[16:23]
	flat_load_b128 v[28:31], v[52:53] offset:112
	s_wait_loadcnt_dscnt 0x0
	v_wmma_f32_16x16x16_fp8_fp8 v[24:31], v[116:117], v[32:33], v[24:31]
	s_delay_alu instid0(VALU_DEP_1) | instskip(SKIP_2) | instid1(VALU_DEP_1)
	v_wmma_f32_16x16x16_fp8_fp8 v[24:31], v[118:119], v[34:35], v[24:31]
	scratch_load_b128 v[32:35], off, s33 offset:544
	v_wmma_f32_16x16x16_fp8_fp8 v[24:31], v[128:129], v[36:37], v[24:31]
	v_wmma_f32_16x16x16_fp8_fp8 v[24:31], v[130:131], v[38:39], v[24:31]
	scratch_load_b128 v[36:39], off, s33 offset:560
	s_wait_loadcnt 0x1
	v_wmma_f32_16x16x16_fp8_fp8 v[0:7], v[98:99], v[32:33], v[0:7]
	s_delay_alu instid0(VALU_DEP_1) | instskip(SKIP_1) | instid1(VALU_DEP_1)
	v_wmma_f32_16x16x16_fp8_fp8 v[0:7], v[100:101], v[34:35], v[0:7]
	s_wait_loadcnt 0x0
	v_wmma_f32_16x16x16_fp8_fp8 v[0:7], v[112:113], v[36:37], v[0:7]
	s_delay_alu instid0(VALU_DEP_1)
	v_wmma_f32_16x16x16_fp8_fp8 v[0:7], v[114:115], v[38:39], v[0:7]
	flat_store_b128 v[52:53], v[0:3]
	scratch_load_b128 v[0:3], off, s33 offset:608
	flat_store_b128 v[52:53], v[4:7] offset:16
	scratch_load_b128 v[4:7], off, s33 offset:624
	s_wait_loadcnt 0x1
	v_nop
	v_wmma_f32_16x16x16_fp8_fp8 v[8:15], v[98:99], v[0:1], v[8:15]
	s_delay_alu instid0(VALU_DEP_1) | instskip(SKIP_3) | instid1(VALU_DEP_1)
	v_wmma_f32_16x16x16_fp8_fp8 v[8:15], v[100:101], v[2:3], v[8:15]
	scratch_load_b128 v[0:3], off, s33 offset:672
	s_wait_loadcnt 0x1
	v_wmma_f32_16x16x16_fp8_fp8 v[8:15], v[112:113], v[4:5], v[8:15]
	v_wmma_f32_16x16x16_fp8_fp8 v[8:15], v[114:115], v[6:7], v[8:15]
	scratch_load_b128 v[4:7], off, s33 offset:688
	s_clause 0x1
	flat_store_b128 v[52:53], v[8:11] offset:32
	flat_store_b128 v[52:53], v[12:15] offset:48
	s_wait_loadcnt 0x1
	v_wmma_f32_16x16x16_fp8_fp8 v[16:23], v[98:99], v[0:1], v[16:23]
	s_delay_alu instid0(VALU_DEP_1) | instskip(SKIP_3) | instid1(VALU_DEP_1)
	v_wmma_f32_16x16x16_fp8_fp8 v[16:23], v[100:101], v[2:3], v[16:23]
	scratch_load_b128 v[0:3], off, s33 offset:736
	s_wait_loadcnt 0x1
	v_wmma_f32_16x16x16_fp8_fp8 v[16:23], v[112:113], v[4:5], v[16:23]
	v_wmma_f32_16x16x16_fp8_fp8 v[16:23], v[114:115], v[6:7], v[16:23]
	scratch_load_b128 v[4:7], off, s33 offset:752
	s_clause 0x1
	flat_store_b128 v[52:53], v[20:23] offset:80
	flat_store_b128 v[52:53], v[16:19] offset:64
	s_wait_loadcnt 0x1
	v_wmma_f32_16x16x16_fp8_fp8 v[24:31], v[98:99], v[0:1], v[24:31]
	s_delay_alu instid0(VALU_DEP_1) | instskip(SKIP_1) | instid1(VALU_DEP_1)
	v_wmma_f32_16x16x16_fp8_fp8 v[24:31], v[100:101], v[2:3], v[24:31]
	s_wait_loadcnt 0x0
	v_wmma_f32_16x16x16_fp8_fp8 v[24:31], v[112:113], v[4:5], v[24:31]
	s_delay_alu instid0(VALU_DEP_1)
	v_wmma_f32_16x16x16_fp8_fp8 v[24:31], v[114:115], v[6:7], v[24:31]
	s_clause 0x1
	flat_store_b128 v[52:53], v[28:31] offset:112
	flat_store_b128 v[52:53], v[24:27] offset:96
	s_clause 0x3
	flat_load_b64 v[7:8], v[64:65] offset:1148
	flat_load_b64 v[9:10], v[64:65] offset:1164
	flat_load_b128 v[0:3], v[64:65] offset:1176
	flat_load_b96 v[4:6], v[64:65] offset:1132
	s_wait_loadcnt_dscnt 0x202
	v_sub_nc_u32_e32 v7, v7, v10
	s_wait_loadcnt_dscnt 0x101
	v_add_nc_u32_e32 v0, v9, v0
	s_wait_loadcnt_dscnt 0x0
	v_sub_nc_u32_e32 v2, v4, v2
	v_add3_u32 v1, v7, v1, 32
	v_sub_nc_u32_e32 v7, v8, v9
	v_sub_nc_u32_e32 v8, v8, v0
	s_delay_alu instid0(VALU_DEP_3) | instskip(NEXT) | instid1(VALU_DEP_1)
	v_ashrrev_i32_e32 v10, 31, v1
	v_lshrrev_b32_e32 v10, 29, v10
	s_delay_alu instid0(VALU_DEP_1) | instskip(NEXT) | instid1(VALU_DEP_1)
	v_add_nc_u32_e32 v10, v1, v10
	v_and_b32_e32 v10, -8, v10
	s_delay_alu instid0(VALU_DEP_1) | instskip(SKIP_1) | instid1(VALU_DEP_2)
	v_sub_nc_u32_e32 v12, v1, v10
	v_sub_nc_u32_e32 v1, v1, v6
	v_xor_b32_e32 v7, v12, v7
	s_delay_alu instid0(VALU_DEP_2) | instskip(NEXT) | instid1(VALU_DEP_2)
	v_lshlrev_b32_e32 v1, 7, v1
	v_sub_nc_u32_e32 v6, v7, v5
	s_delay_alu instid0(VALU_DEP_2) | instskip(NEXT) | instid1(VALU_DEP_2)
	v_add_nc_u32_e32 v2, v2, v1
	v_lshlrev_b32_e32 v6, 4, v6
	s_delay_alu instid0(VALU_DEP_1)
	v_add3_u32 v10, v1, v4, v6
	flat_load_b64 v[6:7], v[54:55]
	v_ashrrev_i32_e32 v11, 31, v10
	s_wait_loadcnt_dscnt 0x0
	v_add_co_u32 v10, vcc_lo, v6, v10
	s_wait_alu 0xfffd
	s_delay_alu instid0(VALU_DEP_2) | instskip(SKIP_2) | instid1(VALU_DEP_1)
	v_add_co_ci_u32_e64 v11, null, v7, v11, vcc_lo
	flat_load_b128 v[116:119], v[10:11]
	v_add_nc_u32_e32 v10, 16, v3
	v_ashrrev_i32_e32 v11, 31, v10
	s_delay_alu instid0(VALU_DEP_1) | instskip(NEXT) | instid1(VALU_DEP_1)
	v_lshrrev_b32_e32 v11, 28, v11
	v_add_nc_u32_e32 v11, v10, v11
	s_delay_alu instid0(VALU_DEP_1) | instskip(SKIP_1) | instid1(VALU_DEP_2)
	v_lshrrev_b32_e32 v13, 4, v11
	v_and_b32_e32 v11, -16, v11
	v_add_nc_u32_e32 v0, v13, v8
	s_delay_alu instid0(VALU_DEP_2) | instskip(NEXT) | instid1(VALU_DEP_2)
	v_sub_nc_u32_e32 v10, v10, v11
	v_xor_b32_e32 v0, v0, v12
	s_delay_alu instid0(VALU_DEP_1) | instskip(NEXT) | instid1(VALU_DEP_1)
	v_sub_nc_u32_e32 v0, v0, v5
	v_lshlrev_b32_e32 v0, 4, v0
	s_delay_alu instid0(VALU_DEP_1) | instskip(NEXT) | instid1(VALU_DEP_1)
	v_add3_u32 v0, v10, v2, v0
	v_ashrrev_i32_e32 v1, 31, v0
	v_add_co_u32 v0, vcc_lo, v6, v0
	s_wait_alu 0xfffd
	s_delay_alu instid0(VALU_DEP_2) | instskip(SKIP_2) | instid1(VALU_DEP_1)
	v_add_co_ci_u32_e64 v1, null, v7, v1, vcc_lo
	flat_load_b128 v[128:131], v[0:1]
	v_add_nc_u32_e32 v0, 64, v3
	v_ashrrev_i32_e32 v1, 31, v0
	s_delay_alu instid0(VALU_DEP_1) | instskip(NEXT) | instid1(VALU_DEP_1)
	v_lshrrev_b32_e32 v1, 28, v1
	v_add_nc_u32_e32 v1, v0, v1
	s_delay_alu instid0(VALU_DEP_1) | instskip(SKIP_1) | instid1(VALU_DEP_1)
	v_lshrrev_b32_e32 v4, 4, v1
	v_and_b32_e32 v1, -16, v1
	v_sub_nc_u32_e32 v0, v0, v1
	s_delay_alu instid0(VALU_DEP_3) | instskip(NEXT) | instid1(VALU_DEP_1)
	v_add_nc_u32_e32 v1, v4, v8
	v_xor_b32_e32 v1, v1, v12
	s_delay_alu instid0(VALU_DEP_1) | instskip(NEXT) | instid1(VALU_DEP_1)
	v_sub_nc_u32_e32 v1, v1, v5
	v_lshlrev_b32_e32 v1, 4, v1
	s_delay_alu instid0(VALU_DEP_1) | instskip(NEXT) | instid1(VALU_DEP_1)
	v_add3_u32 v0, v0, v2, v1
	v_ashrrev_i32_e32 v1, 31, v0
	v_add_co_u32 v0, vcc_lo, v6, v0
	s_wait_alu 0xfffd
	s_delay_alu instid0(VALU_DEP_2) | instskip(SKIP_2) | instid1(VALU_DEP_1)
	v_add_co_ci_u32_e64 v1, null, v7, v1, vcc_lo
	flat_load_b128 v[98:101], v[0:1]
	v_add_nc_u32_e32 v0, 0x50, v3
	v_ashrrev_i32_e32 v1, 31, v0
	s_delay_alu instid0(VALU_DEP_1) | instskip(NEXT) | instid1(VALU_DEP_1)
	v_lshrrev_b32_e32 v1, 28, v1
	v_add_nc_u32_e32 v1, v0, v1
	s_delay_alu instid0(VALU_DEP_1) | instskip(SKIP_1) | instid1(VALU_DEP_1)
	v_lshrrev_b32_e32 v3, 4, v1
	v_and_b32_e32 v1, -16, v1
	v_sub_nc_u32_e32 v0, v0, v1
	s_delay_alu instid0(VALU_DEP_3) | instskip(SKIP_1) | instid1(VALU_DEP_2)
	v_add_nc_u32_e32 v1, v3, v8
	v_mov_b32_e32 v3, s13
	v_xor_b32_e32 v1, v1, v12
	s_delay_alu instid0(VALU_DEP_1) | instskip(NEXT) | instid1(VALU_DEP_1)
	v_sub_nc_u32_e32 v1, v1, v5
	v_lshlrev_b32_e32 v1, 4, v1
	s_delay_alu instid0(VALU_DEP_1) | instskip(SKIP_2) | instid1(VALU_DEP_2)
	v_add3_u32 v0, v0, v2, v1
	s_wait_alu 0xfffe
	v_mov_b32_e32 v2, s3
	v_ashrrev_i32_e32 v1, 31, v0
	v_add_co_u32 v0, vcc_lo, v6, v0
	s_wait_alu 0xfffd
	s_delay_alu instid0(VALU_DEP_2)
	v_add_co_ci_u32_e64 v1, null, v7, v1, vcc_lo
	flat_load_b128 v[112:115], v[0:1]
	v_dual_mov_b32 v0, s33 :: v_dual_mov_b32 v1, s13
	s_swappc_b64 s[30:31], s[0:1]
	; sched_group_barrier mask(0x00000008) size(4) SyncID(0)
	; sched_group_barrier mask(0x00000020) size(1) SyncID(0)
	; sched_group_barrier mask(0x00000008) size(1) SyncID(0)
	; sched_group_barrier mask(0x00000100) size(1) SyncID(0)
	; sched_group_barrier mask(0x00000008) size(3) SyncID(0)
	; sched_group_barrier mask(0x00000020) size(1) SyncID(0)
	; sched_group_barrier mask(0x00000008) size(4) SyncID(0)
	; sched_group_barrier mask(0x00000020) size(1) SyncID(0)
	; sched_group_barrier mask(0x00000008) size(1) SyncID(0)
	; sched_group_barrier mask(0x00000100) size(1) SyncID(0)
	; sched_group_barrier mask(0x00000008) size(3) SyncID(0)
	; sched_group_barrier mask(0x00000020) size(1) SyncID(0)
	; sched_group_barrier mask(0x00000008) size(4) SyncID(0)
	; sched_group_barrier mask(0x00000020) size(1) SyncID(0)
	; sched_group_barrier mask(0x00000008) size(1) SyncID(0)
	; sched_group_barrier mask(0x00000100) size(1) SyncID(0)
	; sched_group_barrier mask(0x00000008) size(3) SyncID(0)
	; sched_group_barrier mask(0x00000020) size(1) SyncID(0)
	; sched_group_barrier mask(0x00000008) size(4) SyncID(0)
	; sched_group_barrier mask(0x00000020) size(1) SyncID(0)
	; sched_group_barrier mask(0x00000008) size(1) SyncID(0)
	; sched_group_barrier mask(0x00000100) size(1) SyncID(0)
	; sched_group_barrier mask(0x00000008) size(3) SyncID(0)
	; sched_group_barrier mask(0x00000020) size(1) SyncID(0)
	; sched_barrier mask(0x00000000)
	s_clause 0x8
	flat_load_u8 v4, v[66:67] offset:288
	flat_load_u8 v8, v[66:67] offset:304
	flat_load_b128 v[0:3], v[66:67]
	flat_load_u8 v12, v[66:67] offset:320
	flat_load_u8 v16, v[66:67] offset:336
	;; [unrolled: 1-line block ×6, first 2 shown]
	s_add_co_i32 s3, s33, 0x200
	s_wait_loadcnt_dscnt 0x808
	v_and_b32_e32 v4, 1, v4
	s_wait_loadcnt_dscnt 0x707
	v_and_b32_e32 v8, 1, v8
	;; [unrolled: 2-line block ×4, first 2 shown]
	v_cmp_eq_u32_e32 vcc_lo, 1, v4
	flat_load_b128 v[4:7], v[66:67] offset:16
	s_wait_loadcnt_dscnt 0x404
	v_and_b32_e32 v20, 1, v20
	s_wait_loadcnt_dscnt 0x303
	v_and_b32_e32 v24, 1, v24
	s_wait_loadcnt_dscnt 0x202
	s_wait_alu 0xfffd
	v_dual_cndmask_b32 v3, 0, v3 :: v_dual_and_b32 v28, 1, v28
	v_dual_cndmask_b32 v2, 0, v2 :: v_dual_cndmask_b32 v1, 0, v1
	v_cndmask_b32_e32 v0, 0, v0, vcc_lo
	v_cmp_eq_u32_e32 vcc_lo, 1, v8
	flat_load_b128 v[8:11], v[66:67] offset:32
	s_wait_loadcnt_dscnt 0x202
	v_and_b32_e32 v31, 1, v31
	s_clause 0x1
	flat_store_b128 v[66:67], v[0:3]
	flat_store_b128 v[66:67], v[0:3] offset:560
	s_wait_loadcnt_dscnt 0x103
	s_wait_alu 0xfffd
	v_dual_cndmask_b32 v7, 0, v7 :: v_dual_cndmask_b32 v6, 0, v6
	v_dual_cndmask_b32 v5, 0, v5 :: v_dual_cndmask_b32 v4, 0, v4
	v_cmp_eq_u32_e32 vcc_lo, 1, v12
	flat_load_b128 v[12:15], v[66:67] offset:48
	flat_store_b128 v[66:67], v[4:7] offset:16
	s_wait_loadcnt_dscnt 0x104
	s_wait_alu 0xfffd
	v_dual_cndmask_b32 v11, 0, v11 :: v_dual_cndmask_b32 v10, 0, v10
	v_dual_cndmask_b32 v9, 0, v9 :: v_dual_cndmask_b32 v8, 0, v8
	v_cmp_eq_u32_e32 vcc_lo, 1, v16
	flat_load_b128 v[16:19], v[66:67] offset:64
	v_perm_b32 v4, v4, v4, 0x3020104
	v_alignbit_b32 v7, v7, v6, 24
	v_perm_b32 v6, v6, v6, 0x3060504
	s_clause 0x1
	flat_store_b128 v[66:67], v[8:11] offset:32
	flat_store_b96 v[66:67], v[4:6] offset:576
	flat_load_b32 v4, v[66:67] offset:31
	v_alignbit_b32 v5, v9, v8, 24
	v_perm_b32 v6, v9, v10, 0x2010007
	s_wait_loadcnt_dscnt 0x205
	s_wait_alu 0xfffd
	v_dual_cndmask_b32 v15, 0, v15 :: v_dual_cndmask_b32 v14, 0, v14
	v_dual_cndmask_b32 v13, 0, v13 :: v_dual_cndmask_b32 v12, 0, v12
	v_cmp_eq_u32_e32 vcc_lo, 1, v20
	flat_load_b128 v[20:23], v[66:67] offset:80
	flat_store_b128 v[66:67], v[12:15] offset:48
	s_wait_loadcnt_dscnt 0x205
	s_wait_alu 0xfffd
	v_dual_cndmask_b32 v19, 0, v19 :: v_dual_cndmask_b32 v18, 0, v18
	v_dual_cndmask_b32 v17, 0, v17 :: v_dual_cndmask_b32 v16, 0, v16
	v_cmp_eq_u32_e32 vcc_lo, 1, v24
	flat_load_b128 v[24:27], v[66:67] offset:96
	flat_store_b128 v[66:67], v[16:19] offset:64
	s_wait_loadcnt_dscnt 0x103
	s_wait_alu 0xfffd
	v_dual_cndmask_b32 v23, 0, v23 :: v_dual_cndmask_b32 v22, 0, v22
	v_dual_cndmask_b32 v21, 0, v21 :: v_dual_cndmask_b32 v20, 0, v20
	v_cmp_eq_u32_e32 vcc_lo, 1, v28
	flat_store_b128 v[66:67], v[20:23] offset:80
	s_wait_loadcnt_dscnt 0x2
	s_wait_alu 0xfffd
	v_dual_cndmask_b32 v25, 0, v25 :: v_dual_cndmask_b32 v24, 0, v24
	v_dual_cndmask_b32 v27, 0, v27 :: v_dual_cndmask_b32 v26, 0, v26
	v_cmp_eq_u32_e32 vcc_lo, 1, v31
	flat_store_b128 v[66:67], v[24:27] offset:96
	flat_load_b128 v[27:30], v[66:67] offset:112
	s_wait_loadcnt_dscnt 0x0
	s_wait_alu 0xfffd
	v_dual_cndmask_b32 v30, 0, v30 :: v_dual_cndmask_b32 v29, 0, v29
	v_dual_cndmask_b32 v28, 0, v28 :: v_dual_cndmask_b32 v27, 0, v27
	flat_store_b128 v[66:67], v[27:30] offset:112
	v_lshrrev_b32_e32 v27, 16, v7
	v_lshrrev_b32_e32 v28, 8, v7
	;; [unrolled: 1-line block ×3, first 2 shown]
	s_delay_alu instid0(VALU_DEP_3) | instskip(NEXT) | instid1(VALU_DEP_3)
	v_lshlrev_b16 v27, 8, v27
	v_and_b32_e32 v28, 0xff, v28
	flat_store_b8 v[66:67], v7 offset:590
	v_alignbit_b32 v7, v11, v10, 24
	flat_load_u8 v11, v[66:67] offset:127
	v_or_b32_e32 v27, v28, v27
	flat_store_b128 v[66:67], v[4:7] offset:591
	flat_load_b32 v4, v[66:67] offset:47
	v_alignbit_b32 v5, v13, v12, 24
	v_perm_b32 v6, v13, v14, 0x2010007
	v_alignbit_b32 v7, v15, v14, 24
	flat_store_b16 v[66:67], v27 offset:588
	s_wait_loadcnt_dscnt 0x103
	flat_store_b8 v[66:67], v11 offset:687
	s_wait_loadcnt_dscnt 0x2
	flat_store_b128 v[66:67], v[4:7] offset:607
	flat_load_b32 v4, v[66:67] offset:63
	v_alignbit_b32 v5, v17, v16, 24
	v_perm_b32 v6, v17, v18, 0x2010007
	v_alignbit_b32 v7, v19, v18, 24
	s_wait_loadcnt_dscnt 0x0
	flat_store_b128 v[66:67], v[4:7] offset:623
	flat_load_b32 v4, v[66:67] offset:79
	v_alignbit_b32 v5, v21, v20, 24
	v_perm_b32 v6, v21, v22, 0x2010007
	v_alignbit_b32 v7, v23, v22, 24
	s_wait_loadcnt_dscnt 0x0
	flat_store_b128 v[66:67], v[4:7] offset:639
	s_clause 0x1
	flat_load_b32 v4, v[66:67] offset:95
	flat_load_b128 v[7:10], v[66:67] offset:107
	v_alignbit_b32 v5, v25, v24, 24
	v_perm_b32 v6, v25, v26, 0x2010007
	s_wait_loadcnt_dscnt 0x0
	flat_store_b128 v[66:67], v[4:7] offset:655
	flat_load_b32 v7, v[66:67] offset:123
	v_dual_mov_b32 v4, v8 :: v_dual_mov_b32 v5, v9
	v_mov_b32_e32 v6, v10
	s_wait_loadcnt_dscnt 0x0
	flat_store_b128 v[66:67], v[4:7] offset:671
	flat_load_b32 v6, v[66:67] offset:728
	flat_load_b64 v[4:5], v[54:55] offset:16
	s_wait_loadcnt_dscnt 0x101
	v_ashrrev_i32_e32 v7, 31, v6
	s_wait_loadcnt_dscnt 0x0
	v_add_co_u32 v4, vcc_lo, v4, v6
	s_wait_alu 0xfffd
	s_delay_alu instid0(VALU_DEP_2)
	v_add_co_ci_u32_e64 v5, null, v5, v7, vcc_lo
	flat_store_b128 v[4:5], v[0:3]
	s_clause 0x1
	flat_load_b32 v0, v[66:67] offset:776
	flat_load_b32 v1, v[66:67] offset:744
	s_wait_loadcnt_dscnt 0x101
	v_add_nc_u32_e32 v103, 1, v0
	flat_load_b32 v0, v[66:67] offset:764
	flat_store_b32 v[66:67], v103 offset:776
	s_wait_loadcnt_dscnt 0x1
	v_sub_nc_u32_e32 v0, v103, v0
	s_delay_alu instid0(VALU_DEP_1)
	v_add_nc_u32_e32 v4, v1, v0
	flat_load_b128 v[0:3], v[66:67] offset:748
	flat_store_b64 v[66:67], v[102:103] offset:760
	s_wait_loadcnt_dscnt 0x1
	v_sub_nc_u32_e32 v5, v0, v3
	flat_load_b96 v[0:2], v[66:67] offset:728
	v_ashrrev_i32_e32 v3, 31, v4
	flat_store_b64 v[66:67], v[4:5] offset:744
	v_lshrrev_b32_e32 v3, 29, v3
	s_delay_alu instid0(VALU_DEP_1) | instskip(NEXT) | instid1(VALU_DEP_1)
	v_add_nc_u32_e32 v3, v4, v3
	v_and_b32_e32 v3, -8, v3
	s_delay_alu instid0(VALU_DEP_1) | instskip(NEXT) | instid1(VALU_DEP_1)
	v_sub_nc_u32_e32 v3, v4, v3
	v_xor_b32_e32 v3, v5, v3
	s_wait_loadcnt_dscnt 0x1
	v_sub_nc_u32_e32 v2, v4, v2
	s_delay_alu instid0(VALU_DEP_2) | instskip(NEXT) | instid1(VALU_DEP_2)
	v_sub_nc_u32_e32 v1, v3, v1
	v_lshlrev_b32_e32 v2, 7, v2
	s_delay_alu instid0(VALU_DEP_2) | instskip(NEXT) | instid1(VALU_DEP_1)
	v_lshlrev_b32_e32 v1, 4, v1
	v_add3_u32 v2, v2, v1, v0
	flat_store_b96 v[66:67], v[2:4] offset:728
	flat_load_b64 v[0:1], v[54:55] offset:16
	v_ashrrev_i32_e32 v3, 31, v2
	s_wait_loadcnt_dscnt 0x0
	v_add_co_u32 v4, vcc_lo, v0, v2
	s_wait_alu 0xfffd
	s_delay_alu instid0(VALU_DEP_2)
	v_add_co_ci_u32_e64 v5, null, v1, v3, vcc_lo
	flat_load_b128 v[0:3], v[66:67] offset:576
	s_wait_loadcnt_dscnt 0x0
	flat_store_b128 v[4:5], v[0:3]
	s_clause 0x1
	flat_load_b32 v0, v[66:67] offset:776
	flat_load_b32 v1, v[66:67] offset:744
	s_wait_loadcnt_dscnt 0x101
	v_add_nc_u32_e32 v103, 1, v0
	flat_load_b32 v0, v[66:67] offset:764
	flat_store_b32 v[66:67], v103 offset:776
	s_wait_loadcnt_dscnt 0x1
	v_sub_nc_u32_e32 v0, v103, v0
	s_delay_alu instid0(VALU_DEP_1)
	v_add_nc_u32_e32 v4, v1, v0
	flat_load_b128 v[0:3], v[66:67] offset:748
	flat_store_b64 v[66:67], v[102:103] offset:760
	s_wait_loadcnt_dscnt 0x1
	v_sub_nc_u32_e32 v5, v0, v3
	flat_load_b96 v[0:2], v[66:67] offset:728
	v_ashrrev_i32_e32 v3, 31, v4
	flat_store_b64 v[66:67], v[4:5] offset:744
	v_lshrrev_b32_e32 v3, 29, v3
	s_delay_alu instid0(VALU_DEP_1) | instskip(NEXT) | instid1(VALU_DEP_1)
	v_add_nc_u32_e32 v3, v4, v3
	v_and_b32_e32 v3, -8, v3
	s_delay_alu instid0(VALU_DEP_1) | instskip(NEXT) | instid1(VALU_DEP_1)
	v_sub_nc_u32_e32 v3, v4, v3
	v_xor_b32_e32 v3, v5, v3
	s_wait_loadcnt_dscnt 0x1
	v_sub_nc_u32_e32 v2, v4, v2
	s_delay_alu instid0(VALU_DEP_2) | instskip(NEXT) | instid1(VALU_DEP_2)
	v_sub_nc_u32_e32 v1, v3, v1
	v_lshlrev_b32_e32 v2, 7, v2
	s_delay_alu instid0(VALU_DEP_2) | instskip(NEXT) | instid1(VALU_DEP_1)
	v_lshlrev_b32_e32 v1, 4, v1
	v_add3_u32 v2, v2, v1, v0
	flat_store_b96 v[66:67], v[2:4] offset:728
	flat_load_b64 v[0:1], v[54:55] offset:16
	v_ashrrev_i32_e32 v3, 31, v2
	s_wait_loadcnt_dscnt 0x0
	v_add_co_u32 v4, vcc_lo, v0, v2
	s_wait_alu 0xfffd
	s_delay_alu instid0(VALU_DEP_2)
	v_add_co_ci_u32_e64 v5, null, v1, v3, vcc_lo
	flat_load_b128 v[0:3], v[66:67] offset:592
	s_wait_loadcnt_dscnt 0x0
	;; [unrolled: 44-line block ×7, first 2 shown]
	flat_store_b128 v[4:5], v[0:3]
	flat_load_b32 v0, v[66:67] offset:776
	s_clause 0x7
	scratch_load_b128 v[6:9], off, s33 offset:512
	scratch_load_b128 v[10:13], off, s33 offset:528
	;; [unrolled: 1-line block ×8, first 2 shown]
	s_wait_loadcnt_dscnt 0x800
	v_add_nc_u32_e32 v103, -7, v0
	flat_load_b64 v[0:1], v[66:67] offset:760
	s_wait_loadcnt 0x8
	v_perm_b32 v15, v7, v7, 0x3020104
	v_perm_b32 v14, v6, v6, 0x3020504
	s_clause 0x1
	flat_store_b32 v[66:67], v103 offset:776
	flat_store_b64 v[66:67], v[102:103] offset:760
	s_wait_loadcnt_dscnt 0x2
	v_sub_nc_u32_e32 v3, v103, v1
	flat_load_b64 v[1:2], v[66:67] offset:744
	s_wait_loadcnt_dscnt 0x0
	v_add_nc_u32_e32 v4, v1, v3
	v_sub_nc_u32_e32 v5, v2, v0
	flat_load_b96 v[0:2], v[66:67] offset:728
	v_ashrrev_i32_e32 v3, 31, v4
	flat_store_b64 v[66:67], v[4:5] offset:744
	v_lshrrev_b32_e32 v3, 29, v3
	s_delay_alu instid0(VALU_DEP_1) | instskip(NEXT) | instid1(VALU_DEP_1)
	v_add_nc_u32_e32 v3, v4, v3
	v_and_b32_e32 v3, -8, v3
	s_delay_alu instid0(VALU_DEP_1) | instskip(NEXT) | instid1(VALU_DEP_1)
	v_sub_nc_u32_e32 v3, v4, v3
	v_xor_b32_e32 v3, v5, v3
	s_wait_loadcnt_dscnt 0x1
	v_sub_nc_u32_e32 v2, v4, v2
	s_delay_alu instid0(VALU_DEP_2) | instskip(NEXT) | instid1(VALU_DEP_2)
	v_sub_nc_u32_e32 v1, v3, v1
	v_lshlrev_b32_e32 v2, 7, v2
	s_delay_alu instid0(VALU_DEP_2) | instskip(NEXT) | instid1(VALU_DEP_1)
	v_lshlrev_b32_e32 v1, 4, v1
	v_add3_u32 v2, v2, v1, v0
	flat_store_b96 v[66:67], v[2:4] offset:728
	s_clause 0x1
	flat_load_b128 v[4:7], v[52:53] offset:144
	flat_load_b128 v[0:3], v[52:53] offset:128
	s_wait_loadcnt_dscnt 0x0
	v_wmma_f32_16x16x16_fp8_fp8 v[0:7], v[116:117], v[14:15], v[0:7]
	s_delay_alu instid0(VALU_DEP_1) | instskip(NEXT) | instid1(VALU_DEP_1)
	v_wmma_f32_16x16x16_fp8_fp8 v[0:7], v[118:119], v[8:9], v[0:7]
	v_wmma_f32_16x16x16_fp8_fp8 v[0:7], v[128:129], v[10:11], v[0:7]
	flat_load_b128 v[8:11], v[52:53] offset:160
	v_wmma_f32_16x16x16_fp8_fp8 v[0:7], v[130:131], v[12:13], v[0:7]
	flat_load_b128 v[12:15], v[52:53] offset:176
	s_wait_loadcnt_dscnt 0x0
	v_wmma_f32_16x16x16_fp8_fp8 v[8:15], v[116:117], v[16:17], v[8:15]
	s_delay_alu instid0(VALU_DEP_1) | instskip(SKIP_2) | instid1(VALU_DEP_1)
	v_wmma_f32_16x16x16_fp8_fp8 v[8:15], v[118:119], v[18:19], v[8:15]
	flat_load_b128 v[16:19], v[52:53] offset:192
	v_wmma_f32_16x16x16_fp8_fp8 v[8:15], v[128:129], v[20:21], v[8:15]
	v_wmma_f32_16x16x16_fp8_fp8 v[8:15], v[130:131], v[22:23], v[8:15]
	flat_load_b128 v[20:23], v[52:53] offset:208
	s_wait_loadcnt_dscnt 0x0
	v_wmma_f32_16x16x16_fp8_fp8 v[16:23], v[116:117], v[24:25], v[16:23]
	s_delay_alu instid0(VALU_DEP_1) | instskip(SKIP_2) | instid1(VALU_DEP_1)
	v_wmma_f32_16x16x16_fp8_fp8 v[16:23], v[118:119], v[26:27], v[16:23]
	flat_load_b128 v[24:27], v[52:53] offset:224
	v_wmma_f32_16x16x16_fp8_fp8 v[16:23], v[128:129], v[28:29], v[16:23]
	v_wmma_f32_16x16x16_fp8_fp8 v[16:23], v[130:131], v[30:31], v[16:23]
	flat_load_b128 v[28:31], v[52:53] offset:240
	s_wait_loadcnt_dscnt 0x0
	v_wmma_f32_16x16x16_fp8_fp8 v[24:31], v[116:117], v[32:33], v[24:31]
	s_delay_alu instid0(VALU_DEP_1) | instskip(SKIP_2) | instid1(VALU_DEP_1)
	v_wmma_f32_16x16x16_fp8_fp8 v[24:31], v[118:119], v[34:35], v[24:31]
	scratch_load_b128 v[32:35], off, s33 offset:544
	v_wmma_f32_16x16x16_fp8_fp8 v[24:31], v[128:129], v[36:37], v[24:31]
	v_wmma_f32_16x16x16_fp8_fp8 v[24:31], v[130:131], v[38:39], v[24:31]
	scratch_load_b128 v[36:39], off, s33 offset:560
	s_wait_loadcnt 0x1
	v_wmma_f32_16x16x16_fp8_fp8 v[0:7], v[98:99], v[32:33], v[0:7]
	s_delay_alu instid0(VALU_DEP_1) | instskip(SKIP_1) | instid1(VALU_DEP_1)
	v_wmma_f32_16x16x16_fp8_fp8 v[0:7], v[100:101], v[34:35], v[0:7]
	s_wait_loadcnt 0x0
	v_wmma_f32_16x16x16_fp8_fp8 v[0:7], v[112:113], v[36:37], v[0:7]
	s_delay_alu instid0(VALU_DEP_1)
	v_wmma_f32_16x16x16_fp8_fp8 v[0:7], v[114:115], v[38:39], v[0:7]
	flat_store_b128 v[52:53], v[0:3] offset:128
	scratch_load_b128 v[0:3], off, s33 offset:608
	flat_store_b128 v[52:53], v[4:7] offset:144
	scratch_load_b128 v[4:7], off, s33 offset:624
	s_wait_loadcnt 0x1
	v_nop
	v_wmma_f32_16x16x16_fp8_fp8 v[8:15], v[98:99], v[0:1], v[8:15]
	s_delay_alu instid0(VALU_DEP_1) | instskip(SKIP_3) | instid1(VALU_DEP_1)
	v_wmma_f32_16x16x16_fp8_fp8 v[8:15], v[100:101], v[2:3], v[8:15]
	scratch_load_b128 v[0:3], off, s33 offset:672
	s_wait_loadcnt 0x1
	v_wmma_f32_16x16x16_fp8_fp8 v[8:15], v[112:113], v[4:5], v[8:15]
	v_wmma_f32_16x16x16_fp8_fp8 v[8:15], v[114:115], v[6:7], v[8:15]
	scratch_load_b128 v[4:7], off, s33 offset:688
	s_clause 0x1
	flat_store_b128 v[52:53], v[12:15] offset:176
	flat_store_b128 v[52:53], v[8:11] offset:160
	s_wait_loadcnt 0x1
	v_wmma_f32_16x16x16_fp8_fp8 v[16:23], v[98:99], v[0:1], v[16:23]
	s_delay_alu instid0(VALU_DEP_1) | instskip(SKIP_3) | instid1(VALU_DEP_1)
	v_wmma_f32_16x16x16_fp8_fp8 v[16:23], v[100:101], v[2:3], v[16:23]
	scratch_load_b128 v[0:3], off, s33 offset:736
	s_wait_loadcnt 0x1
	v_wmma_f32_16x16x16_fp8_fp8 v[16:23], v[112:113], v[4:5], v[16:23]
	v_wmma_f32_16x16x16_fp8_fp8 v[16:23], v[114:115], v[6:7], v[16:23]
	scratch_load_b128 v[4:7], off, s33 offset:752
	s_clause 0x1
	flat_store_b128 v[52:53], v[20:23] offset:208
	flat_store_b128 v[52:53], v[16:19] offset:192
	s_wait_loadcnt 0x1
	v_wmma_f32_16x16x16_fp8_fp8 v[24:31], v[98:99], v[0:1], v[24:31]
	s_delay_alu instid0(VALU_DEP_1) | instskip(SKIP_1) | instid1(VALU_DEP_1)
	v_wmma_f32_16x16x16_fp8_fp8 v[24:31], v[100:101], v[2:3], v[24:31]
	s_wait_loadcnt 0x0
	v_wmma_f32_16x16x16_fp8_fp8 v[24:31], v[112:113], v[4:5], v[24:31]
	s_delay_alu instid0(VALU_DEP_1)
	v_wmma_f32_16x16x16_fp8_fp8 v[24:31], v[114:115], v[6:7], v[24:31]
	s_clause 0x1
	flat_store_b128 v[52:53], v[28:31] offset:240
	flat_store_b128 v[52:53], v[24:27] offset:224
	s_clause 0x3
	flat_load_b64 v[7:8], v[64:65] offset:1148
	flat_load_b64 v[9:10], v[64:65] offset:1164
	flat_load_b128 v[0:3], v[64:65] offset:1176
	flat_load_b96 v[4:6], v[64:65] offset:1132
	s_wait_loadcnt_dscnt 0x202
	v_sub_nc_u32_e32 v7, v7, v10
	s_wait_loadcnt_dscnt 0x101
	v_add_nc_u32_e32 v0, v9, v0
	s_wait_loadcnt_dscnt 0x0
	v_sub_nc_u32_e32 v2, v4, v2
	v_add3_u32 v1, v7, v1, 64
	v_sub_nc_u32_e32 v7, v8, v9
	v_sub_nc_u32_e32 v8, v8, v0
	s_delay_alu instid0(VALU_DEP_3) | instskip(NEXT) | instid1(VALU_DEP_1)
	v_ashrrev_i32_e32 v10, 31, v1
	v_lshrrev_b32_e32 v10, 29, v10
	s_delay_alu instid0(VALU_DEP_1) | instskip(NEXT) | instid1(VALU_DEP_1)
	v_add_nc_u32_e32 v10, v1, v10
	v_and_b32_e32 v10, -8, v10
	s_delay_alu instid0(VALU_DEP_1) | instskip(SKIP_1) | instid1(VALU_DEP_2)
	v_sub_nc_u32_e32 v12, v1, v10
	v_sub_nc_u32_e32 v1, v1, v6
	v_xor_b32_e32 v7, v12, v7
	s_delay_alu instid0(VALU_DEP_2) | instskip(NEXT) | instid1(VALU_DEP_2)
	v_lshlrev_b32_e32 v1, 7, v1
	v_sub_nc_u32_e32 v6, v7, v5
	s_delay_alu instid0(VALU_DEP_2) | instskip(NEXT) | instid1(VALU_DEP_2)
	v_add_nc_u32_e32 v2, v2, v1
	v_lshlrev_b32_e32 v6, 4, v6
	s_delay_alu instid0(VALU_DEP_1)
	v_add3_u32 v10, v1, v4, v6
	flat_load_b64 v[6:7], v[54:55]
	v_ashrrev_i32_e32 v11, 31, v10
	s_wait_loadcnt_dscnt 0x0
	v_add_co_u32 v10, vcc_lo, v6, v10
	s_wait_alu 0xfffd
	s_delay_alu instid0(VALU_DEP_2) | instskip(SKIP_2) | instid1(VALU_DEP_1)
	v_add_co_ci_u32_e64 v11, null, v7, v11, vcc_lo
	flat_load_b128 v[116:119], v[10:11]
	v_add_nc_u32_e32 v10, 16, v3
	v_ashrrev_i32_e32 v11, 31, v10
	s_delay_alu instid0(VALU_DEP_1) | instskip(NEXT) | instid1(VALU_DEP_1)
	v_lshrrev_b32_e32 v11, 28, v11
	v_add_nc_u32_e32 v11, v10, v11
	s_delay_alu instid0(VALU_DEP_1) | instskip(SKIP_1) | instid1(VALU_DEP_2)
	v_lshrrev_b32_e32 v13, 4, v11
	v_and_b32_e32 v11, -16, v11
	v_add_nc_u32_e32 v0, v13, v8
	s_delay_alu instid0(VALU_DEP_2) | instskip(NEXT) | instid1(VALU_DEP_2)
	v_sub_nc_u32_e32 v10, v10, v11
	v_xor_b32_e32 v0, v0, v12
	s_delay_alu instid0(VALU_DEP_1) | instskip(NEXT) | instid1(VALU_DEP_1)
	v_sub_nc_u32_e32 v0, v0, v5
	v_lshlrev_b32_e32 v0, 4, v0
	s_delay_alu instid0(VALU_DEP_1) | instskip(NEXT) | instid1(VALU_DEP_1)
	v_add3_u32 v0, v10, v2, v0
	v_ashrrev_i32_e32 v1, 31, v0
	v_add_co_u32 v0, vcc_lo, v6, v0
	s_wait_alu 0xfffd
	s_delay_alu instid0(VALU_DEP_2) | instskip(SKIP_2) | instid1(VALU_DEP_1)
	v_add_co_ci_u32_e64 v1, null, v7, v1, vcc_lo
	flat_load_b128 v[128:131], v[0:1]
	v_add_nc_u32_e32 v0, 64, v3
	v_ashrrev_i32_e32 v1, 31, v0
	s_delay_alu instid0(VALU_DEP_1) | instskip(NEXT) | instid1(VALU_DEP_1)
	v_lshrrev_b32_e32 v1, 28, v1
	v_add_nc_u32_e32 v1, v0, v1
	s_delay_alu instid0(VALU_DEP_1) | instskip(SKIP_1) | instid1(VALU_DEP_1)
	v_lshrrev_b32_e32 v4, 4, v1
	v_and_b32_e32 v1, -16, v1
	v_sub_nc_u32_e32 v0, v0, v1
	s_delay_alu instid0(VALU_DEP_3) | instskip(NEXT) | instid1(VALU_DEP_1)
	v_add_nc_u32_e32 v1, v4, v8
	v_xor_b32_e32 v1, v1, v12
	s_delay_alu instid0(VALU_DEP_1) | instskip(NEXT) | instid1(VALU_DEP_1)
	v_sub_nc_u32_e32 v1, v1, v5
	v_lshlrev_b32_e32 v1, 4, v1
	s_delay_alu instid0(VALU_DEP_1) | instskip(NEXT) | instid1(VALU_DEP_1)
	v_add3_u32 v0, v0, v2, v1
	v_ashrrev_i32_e32 v1, 31, v0
	v_add_co_u32 v0, vcc_lo, v6, v0
	s_wait_alu 0xfffd
	s_delay_alu instid0(VALU_DEP_2) | instskip(SKIP_2) | instid1(VALU_DEP_1)
	v_add_co_ci_u32_e64 v1, null, v7, v1, vcc_lo
	flat_load_b128 v[98:101], v[0:1]
	v_add_nc_u32_e32 v0, 0x50, v3
	v_ashrrev_i32_e32 v1, 31, v0
	s_delay_alu instid0(VALU_DEP_1) | instskip(NEXT) | instid1(VALU_DEP_1)
	v_lshrrev_b32_e32 v1, 28, v1
	v_add_nc_u32_e32 v1, v0, v1
	s_delay_alu instid0(VALU_DEP_1) | instskip(SKIP_1) | instid1(VALU_DEP_1)
	v_lshrrev_b32_e32 v3, 4, v1
	v_and_b32_e32 v1, -16, v1
	v_sub_nc_u32_e32 v0, v0, v1
	s_delay_alu instid0(VALU_DEP_3) | instskip(SKIP_1) | instid1(VALU_DEP_2)
	v_add_nc_u32_e32 v1, v3, v8
	v_mov_b32_e32 v3, s13
	v_xor_b32_e32 v1, v1, v12
	s_delay_alu instid0(VALU_DEP_1) | instskip(NEXT) | instid1(VALU_DEP_1)
	v_sub_nc_u32_e32 v1, v1, v5
	v_lshlrev_b32_e32 v1, 4, v1
	s_delay_alu instid0(VALU_DEP_1) | instskip(SKIP_2) | instid1(VALU_DEP_2)
	v_add3_u32 v0, v0, v2, v1
	s_wait_alu 0xfffe
	v_mov_b32_e32 v2, s3
	v_ashrrev_i32_e32 v1, 31, v0
	v_add_co_u32 v0, vcc_lo, v6, v0
	s_wait_alu 0xfffd
	s_delay_alu instid0(VALU_DEP_2)
	v_add_co_ci_u32_e64 v1, null, v7, v1, vcc_lo
	flat_load_b128 v[112:115], v[0:1]
	v_dual_mov_b32 v0, s33 :: v_dual_mov_b32 v1, s13
	s_swappc_b64 s[30:31], s[0:1]
	; sched_group_barrier mask(0x00000008) size(3) SyncID(0)
	; sched_group_barrier mask(0x00000200) size(1) SyncID(0)
	;; [unrolled: 1-line block ×24, first 2 shown]
	; sched_barrier mask(0x00000000)
	flat_store_b8 v[66:67], v135 offset:288
	flat_load_b128 v[0:3], v[86:87]
	flat_load_b64 v[11:12], v[66:67] offset:704
	s_wait_loadcnt_dscnt 0x101
	v_mov_b32_e32 v3, v133
	s_mov_b32 s1, exec_lo
	v_and_b32_e32 v1, 0xffff, v1
.LBB8_83:                               ;   Parent Loop BB8_64 Depth=1
                                        ; =>  This Inner Loop Header: Depth=2
	v_readfirstlane_b32 s8, v0
	s_delay_alu instid0(VALU_DEP_2) | instskip(SKIP_3) | instid1(VALU_DEP_3)
	v_readfirstlane_b32 s9, v1
	v_readfirstlane_b32 s10, v2
	;; [unrolled: 1-line block ×3, first 2 shown]
	s_wait_alu 0xf1ff
	v_cmp_eq_u64_e32 vcc_lo, s[8:9], v[0:1]
	s_delay_alu instid0(VALU_DEP_2)
	v_cmp_eq_u64_e64 s0, s[10:11], v[2:3]
	s_and_b32 s0, vcc_lo, s0
	s_wait_alu 0xfffe
	s_and_saveexec_b32 s0, s0
	s_wait_loadcnt_dscnt 0x0
	buffer_load_b128 v[4:7], v11, s[8:11], null offen
                                        ; implicit-def: $vgpr0_vgpr1_vgpr2_vgpr3
	s_xor_b32 exec_lo, exec_lo, s0
	s_cbranch_execnz .LBB8_83
; %bb.84:                               ;   in Loop: Header=BB8_64 Depth=1
	s_mov_b32 exec_lo, s1
	flat_load_b96 v[8:10], v[66:67] offset:716
	v_add_nc_u32_e32 v1, 1, v12
	s_mov_b32 s1, exec_lo
	s_wait_loadcnt_dscnt 0x0
	v_add_nc_u32_e32 v0, 1, v10
	s_clause 0x2
	flat_store_b128 v[66:67], v[4:7]
	flat_store_b32 v[66:67], v0 offset:724
	flat_store_b32 v[66:67], v1 offset:708
	flat_load_b32 v0, v[96:97] offset:8
	s_wait_loadcnt_dscnt 0x0
	v_add_nc_u32_e32 v11, v0, v11
	s_clause 0x1
	flat_store_b32 v[66:67], v11 offset:704
	flat_store_b8 v[66:67], v135 offset:304
	flat_load_b128 v[0:3], v[86:87]
	s_wait_loadcnt_dscnt 0x0
	v_mov_b32_e32 v3, v133
	v_and_b32_e32 v1, 0xffff, v1
.LBB8_85:                               ;   Parent Loop BB8_64 Depth=1
                                        ; =>  This Inner Loop Header: Depth=2
	v_readfirstlane_b32 s8, v0
	s_delay_alu instid0(VALU_DEP_2) | instskip(SKIP_3) | instid1(VALU_DEP_3)
	v_readfirstlane_b32 s9, v1
	v_readfirstlane_b32 s10, v2
	v_readfirstlane_b32 s11, v3
	s_wait_alu 0xf1ff
	v_cmp_eq_u64_e32 vcc_lo, s[8:9], v[0:1]
	s_delay_alu instid0(VALU_DEP_2)
	v_cmp_eq_u64_e64 s0, s[10:11], v[2:3]
	s_and_b32 s0, vcc_lo, s0
	s_wait_alu 0xfffe
	s_and_saveexec_b32 s0, s0
	s_wait_loadcnt 0x0
	buffer_load_b128 v[4:7], v11, s[8:11], null offen
                                        ; implicit-def: $vgpr0_vgpr1_vgpr2_vgpr3
	s_xor_b32 exec_lo, exec_lo, s0
	s_cbranch_execnz .LBB8_85
; %bb.86:                               ;   in Loop: Header=BB8_64 Depth=1
	s_mov_b32 exec_lo, s1
	v_add_nc_u32_e32 v0, 2, v10
	v_add_nc_u32_e32 v1, 2, v12
	s_mov_b32 s1, exec_lo
	s_wait_loadcnt 0x0
	s_clause 0x2
	flat_store_b128 v[66:67], v[4:7] offset:16
	flat_store_b32 v[66:67], v0 offset:724
	flat_store_b32 v[66:67], v1 offset:708
	flat_load_b32 v0, v[96:97] offset:8
	s_wait_loadcnt_dscnt 0x0
	v_add_nc_u32_e32 v11, v0, v11
	s_clause 0x1
	flat_store_b32 v[66:67], v11 offset:704
	flat_store_b8 v[66:67], v135 offset:320
	flat_load_b128 v[0:3], v[86:87]
	s_wait_loadcnt_dscnt 0x0
	v_mov_b32_e32 v3, v133
	v_and_b32_e32 v1, 0xffff, v1
.LBB8_87:                               ;   Parent Loop BB8_64 Depth=1
                                        ; =>  This Inner Loop Header: Depth=2
	v_readfirstlane_b32 s8, v0
	s_delay_alu instid0(VALU_DEP_2) | instskip(SKIP_3) | instid1(VALU_DEP_3)
	v_readfirstlane_b32 s9, v1
	v_readfirstlane_b32 s10, v2
	v_readfirstlane_b32 s11, v3
	s_wait_alu 0xf1ff
	v_cmp_eq_u64_e32 vcc_lo, s[8:9], v[0:1]
	s_delay_alu instid0(VALU_DEP_2)
	v_cmp_eq_u64_e64 s0, s[10:11], v[2:3]
	s_and_b32 s0, vcc_lo, s0
	s_wait_alu 0xfffe
	s_and_saveexec_b32 s0, s0
	s_wait_loadcnt 0x0
	buffer_load_b128 v[4:7], v11, s[8:11], null offen
                                        ; implicit-def: $vgpr0_vgpr1_vgpr2_vgpr3
	s_xor_b32 exec_lo, exec_lo, s0
	s_cbranch_execnz .LBB8_87
; %bb.88:                               ;   in Loop: Header=BB8_64 Depth=1
	s_mov_b32 exec_lo, s1
	v_add_nc_u32_e32 v0, 3, v10
	v_add_nc_u32_e32 v1, 3, v12
	s_mov_b32 s1, exec_lo
	s_wait_loadcnt 0x0
	s_clause 0x2
	flat_store_b128 v[66:67], v[4:7] offset:32
	;; [unrolled: 39-line block ×6, first 2 shown]
	flat_store_b32 v[66:67], v0 offset:724
	flat_store_b32 v[66:67], v1 offset:708
	flat_load_b32 v0, v[96:97] offset:8
	s_wait_loadcnt_dscnt 0x0
	v_add_nc_u32_e32 v11, v0, v11
	flat_store_b32 v[66:67], v11 offset:704
	flat_load_b128 v[0:3], v[86:87]
	s_wait_loadcnt_dscnt 0x0
	v_mov_b32_e32 v3, v133
	flat_store_b8 v[66:67], v135 offset:400
	v_and_b32_e32 v1, 0xffff, v1
.LBB8_97:                               ;   Parent Loop BB8_64 Depth=1
                                        ; =>  This Inner Loop Header: Depth=2
	v_readfirstlane_b32 s8, v0
	s_delay_alu instid0(VALU_DEP_2) | instskip(SKIP_3) | instid1(VALU_DEP_3)
	v_readfirstlane_b32 s9, v1
	v_readfirstlane_b32 s10, v2
	;; [unrolled: 1-line block ×3, first 2 shown]
	s_wait_alu 0xf1ff
	v_cmp_eq_u64_e32 vcc_lo, s[8:9], v[0:1]
	s_delay_alu instid0(VALU_DEP_2)
	v_cmp_eq_u64_e64 s0, s[10:11], v[2:3]
	s_and_b32 s0, vcc_lo, s0
	s_wait_alu 0xfffe
	s_and_saveexec_b32 s0, s0
	s_wait_loadcnt 0x0
	buffer_load_b128 v[4:7], v11, s[8:11], null offen
                                        ; implicit-def: $vgpr0_vgpr1_vgpr2_vgpr3
	s_xor_b32 exec_lo, exec_lo, s0
	s_cbranch_execnz .LBB8_97
; %bb.98:                               ;   in Loop: Header=BB8_64 Depth=1
	s_mov_b32 exec_lo, s1
	s_wait_loadcnt 0x0
	flat_store_b128 v[66:67], v[4:7] offset:112
	flat_load_b96 v[0:2], v[84:85]
	s_mov_b32 s0, exec_lo
	s_wait_loadcnt_dscnt 0x0
	v_add_nc_u32_e32 v3, -7, v1
	v_add_nc_u32_e32 v4, v8, v0
	v_add_nc_u32_e32 v6, v1, v10
	;; [unrolled: 1-line block ×3, first 2 shown]
	flat_store_b96 v[66:67], v[4:6] offset:716
	v_cmpx_ne_u32_e32 0, v3
	s_cbranch_execz .LBB8_100
; %bb.99:                               ;   in Loop: Header=BB8_64 Depth=1
	v_add_nc_u32_e32 v1, v1, v12
	flat_store_b32 v[66:67], v1 offset:708
.LBB8_100:                              ;   in Loop: Header=BB8_64 Depth=1
	s_wait_alu 0xfffe
	s_or_b32 exec_lo, exec_lo, s0
	v_or_b32_e32 v4, v2, v0
	v_mov_b32_e32 v1, 0
	s_mov_b32 s0, exec_lo
	s_delay_alu instid0(VALU_DEP_2)
	v_cmpx_ne_u32_e32 0, v4
	s_cbranch_execz .LBB8_102
; %bb.101:                              ;   in Loop: Header=BB8_64 Depth=1
	flat_load_b32 v5, v[96:97] offset:24
	flat_load_b32 v6, v[66:67] offset:712
	v_mov_b32_e32 v1, v2
	s_wait_loadcnt_dscnt 0x101
	s_delay_alu instid0(VALU_DEP_1) | instskip(SKIP_1) | instid1(VALU_DEP_1)
	v_mad_co_u64_u32 v[1:2], null, v5, v0, v[1:2]
	s_wait_loadcnt_dscnt 0x0
	v_add_nc_u32_e32 v0, v1, v6
	flat_store_b32 v[66:67], v0 offset:712
.LBB8_102:                              ;   in Loop: Header=BB8_64 Depth=1
	s_wait_alu 0xfffe
	s_or_b32 exec_lo, exec_lo, s0
	v_or_b32_e32 v0, v4, v3
	s_mov_b32 s0, exec_lo
	s_delay_alu instid0(VALU_DEP_1)
	v_cmpx_ne_u32_e32 0, v0
	s_cbranch_execz .LBB8_104
; %bb.103:                              ;   in Loop: Header=BB8_64 Depth=1
	flat_load_b32 v0, v[96:97] offset:8
	s_wait_loadcnt_dscnt 0x0
	v_mul_lo_u32 v0, v0, v3
	s_delay_alu instid0(VALU_DEP_1)
	v_add3_u32 v0, v1, v11, v0
	flat_store_b32 v[66:67], v0 offset:704
.LBB8_104:                              ;   in Loop: Header=BB8_64 Depth=1
	s_wait_alu 0xfffe
	s_or_b32 exec_lo, exec_lo, s0
	scratch_load_b128 v[6:9], off, s33 offset:512
	flat_load_b128 v[0:3], v[52:53] offset:256
	s_clause 0x6
	scratch_load_b128 v[10:13], off, s33 offset:528
	scratch_load_b128 v[16:19], off, s33 offset:576
	;; [unrolled: 1-line block ×7, first 2 shown]
	s_getpc_b64 s[0:1]
	s_wait_alu 0xfffe
	s_sext_i32_i16 s1, s1
	s_add_co_u32 s0, s0, _ZNK2ck44ThreadwiseTensorSliceTransfer_StaticToStaticINS_7pk_i4_tENS_9f8_fnuz_tEKNS_16TensorDescriptorINS_5TupleIJNS_7UnMergeINS4_IJNS_17integral_constantIiLi4EEENS6_IiLi1EEENS6_IiLi2EEENS6_IiLi32EEEEEELb0EEEEEENS4_IJNS_8SequenceIJLi0EEEEEEENS4_IJNSE_IJLi1ELi2ELi3ELi4EEEEEEESH_NS6_IlLl256EEEEESL_NS_16tensor_operation12element_wise11PassThroughENSE_IJLi4ELi1ELi2ELi32EEEENSE_IJLi1ELi2ELi0ELi3EEEELi3ELi32ELb0EE3RunINS4_IJNS6_IiLi0EEEST_ST_ST_EEESU_NS_12StaticBufferILNS_16AddressSpaceEnumE4ES1_Li256ELb1EEENSV_ILSW_4ES2_Li256ELb1EEEEEvRSL_RKT_RKT1_SZ_RKT0_RT2_@rel32@lo+12
	s_wait_alu 0xfffe
	s_add_co_ci_u32 s1, s1, _ZNK2ck44ThreadwiseTensorSliceTransfer_StaticToStaticINS_7pk_i4_tENS_9f8_fnuz_tEKNS_16TensorDescriptorINS_5TupleIJNS_7UnMergeINS4_IJNS_17integral_constantIiLi4EEENS6_IiLi1EEENS6_IiLi2EEENS6_IiLi32EEEEEELb0EEEEEENS4_IJNS_8SequenceIJLi0EEEEEEENS4_IJNSE_IJLi1ELi2ELi3ELi4EEEEEEESH_NS6_IlLl256EEEEESL_NS_16tensor_operation12element_wise11PassThroughENSE_IJLi4ELi1ELi2ELi32EEEENSE_IJLi1ELi2ELi0ELi3EEEELi3ELi32ELb0EE3RunINS4_IJNS6_IiLi0EEEST_ST_ST_EEESU_NS_12StaticBufferILNS_16AddressSpaceEnumE4ES1_Li256ELb1EEENSV_ILSW_4ES2_Li256ELb1EEEEEvRSL_RKT_RKT1_SZ_RKT0_RT2_@rel32@hi+24
	s_add_co_i32 s3, s33, 0x200
	s_wait_loadcnt 0x8
	v_perm_b32 v15, v7, v7, 0x3020104
	v_perm_b32 v14, v6, v6, 0x3020504
	flat_load_b128 v[4:7], v[52:53] offset:272
	s_wait_loadcnt_dscnt 0x0
	v_wmma_f32_16x16x16_fp8_fp8 v[0:7], v[116:117], v[14:15], v[0:7]
	s_delay_alu instid0(VALU_DEP_1) | instskip(NEXT) | instid1(VALU_DEP_1)
	v_wmma_f32_16x16x16_fp8_fp8 v[0:7], v[118:119], v[8:9], v[0:7]
	v_wmma_f32_16x16x16_fp8_fp8 v[0:7], v[128:129], v[10:11], v[0:7]
	flat_load_b128 v[8:11], v[52:53] offset:288
	v_wmma_f32_16x16x16_fp8_fp8 v[0:7], v[130:131], v[12:13], v[0:7]
	flat_load_b128 v[12:15], v[52:53] offset:304
	s_wait_loadcnt_dscnt 0x0
	v_wmma_f32_16x16x16_fp8_fp8 v[8:15], v[116:117], v[16:17], v[8:15]
	s_delay_alu instid0(VALU_DEP_1) | instskip(SKIP_2) | instid1(VALU_DEP_1)
	v_wmma_f32_16x16x16_fp8_fp8 v[8:15], v[118:119], v[18:19], v[8:15]
	flat_load_b128 v[16:19], v[52:53] offset:320
	v_wmma_f32_16x16x16_fp8_fp8 v[8:15], v[128:129], v[20:21], v[8:15]
	v_wmma_f32_16x16x16_fp8_fp8 v[8:15], v[130:131], v[22:23], v[8:15]
	flat_load_b128 v[20:23], v[52:53] offset:336
	s_wait_loadcnt_dscnt 0x0
	v_wmma_f32_16x16x16_fp8_fp8 v[16:23], v[116:117], v[24:25], v[16:23]
	s_delay_alu instid0(VALU_DEP_1) | instskip(SKIP_2) | instid1(VALU_DEP_1)
	v_wmma_f32_16x16x16_fp8_fp8 v[16:23], v[118:119], v[26:27], v[16:23]
	flat_load_b128 v[24:27], v[52:53] offset:352
	v_wmma_f32_16x16x16_fp8_fp8 v[16:23], v[128:129], v[28:29], v[16:23]
	v_wmma_f32_16x16x16_fp8_fp8 v[16:23], v[130:131], v[30:31], v[16:23]
	flat_load_b128 v[28:31], v[52:53] offset:368
	s_wait_loadcnt_dscnt 0x0
	v_wmma_f32_16x16x16_fp8_fp8 v[24:31], v[116:117], v[32:33], v[24:31]
	s_delay_alu instid0(VALU_DEP_1) | instskip(SKIP_2) | instid1(VALU_DEP_1)
	v_wmma_f32_16x16x16_fp8_fp8 v[24:31], v[118:119], v[34:35], v[24:31]
	scratch_load_b128 v[32:35], off, s33 offset:544
	v_wmma_f32_16x16x16_fp8_fp8 v[24:31], v[128:129], v[36:37], v[24:31]
	v_wmma_f32_16x16x16_fp8_fp8 v[24:31], v[130:131], v[38:39], v[24:31]
	scratch_load_b128 v[36:39], off, s33 offset:560
	s_wait_loadcnt 0x1
	v_wmma_f32_16x16x16_fp8_fp8 v[0:7], v[98:99], v[32:33], v[0:7]
	s_delay_alu instid0(VALU_DEP_1) | instskip(SKIP_1) | instid1(VALU_DEP_1)
	v_wmma_f32_16x16x16_fp8_fp8 v[0:7], v[100:101], v[34:35], v[0:7]
	s_wait_loadcnt 0x0
	v_wmma_f32_16x16x16_fp8_fp8 v[0:7], v[112:113], v[36:37], v[0:7]
	s_delay_alu instid0(VALU_DEP_1)
	v_wmma_f32_16x16x16_fp8_fp8 v[0:7], v[114:115], v[38:39], v[0:7]
	flat_store_b128 v[52:53], v[0:3] offset:256
	scratch_load_b128 v[0:3], off, s33 offset:608
	flat_store_b128 v[52:53], v[4:7] offset:272
	scratch_load_b128 v[4:7], off, s33 offset:624
	s_wait_loadcnt 0x1
	v_nop
	v_wmma_f32_16x16x16_fp8_fp8 v[8:15], v[98:99], v[0:1], v[8:15]
	s_delay_alu instid0(VALU_DEP_1) | instskip(SKIP_3) | instid1(VALU_DEP_1)
	v_wmma_f32_16x16x16_fp8_fp8 v[8:15], v[100:101], v[2:3], v[8:15]
	scratch_load_b128 v[0:3], off, s33 offset:672
	s_wait_loadcnt 0x1
	v_wmma_f32_16x16x16_fp8_fp8 v[8:15], v[112:113], v[4:5], v[8:15]
	v_wmma_f32_16x16x16_fp8_fp8 v[8:15], v[114:115], v[6:7], v[8:15]
	scratch_load_b128 v[4:7], off, s33 offset:688
	s_clause 0x1
	flat_store_b128 v[52:53], v[8:11] offset:288
	flat_store_b128 v[52:53], v[12:15] offset:304
	s_wait_loadcnt 0x1
	v_wmma_f32_16x16x16_fp8_fp8 v[16:23], v[98:99], v[0:1], v[16:23]
	s_delay_alu instid0(VALU_DEP_1) | instskip(SKIP_3) | instid1(VALU_DEP_1)
	v_wmma_f32_16x16x16_fp8_fp8 v[16:23], v[100:101], v[2:3], v[16:23]
	scratch_load_b128 v[0:3], off, s33 offset:736
	s_wait_loadcnt 0x1
	v_wmma_f32_16x16x16_fp8_fp8 v[16:23], v[112:113], v[4:5], v[16:23]
	v_wmma_f32_16x16x16_fp8_fp8 v[16:23], v[114:115], v[6:7], v[16:23]
	scratch_load_b128 v[4:7], off, s33 offset:752
	s_clause 0x1
	flat_store_b128 v[52:53], v[20:23] offset:336
	flat_store_b128 v[52:53], v[16:19] offset:320
	s_wait_loadcnt 0x1
	v_wmma_f32_16x16x16_fp8_fp8 v[24:31], v[98:99], v[0:1], v[24:31]
	s_delay_alu instid0(VALU_DEP_1) | instskip(SKIP_1) | instid1(VALU_DEP_1)
	v_wmma_f32_16x16x16_fp8_fp8 v[24:31], v[100:101], v[2:3], v[24:31]
	s_wait_loadcnt 0x0
	v_wmma_f32_16x16x16_fp8_fp8 v[24:31], v[112:113], v[4:5], v[24:31]
	s_delay_alu instid0(VALU_DEP_1)
	v_wmma_f32_16x16x16_fp8_fp8 v[24:31], v[114:115], v[6:7], v[24:31]
	s_clause 0x1
	flat_store_b128 v[52:53], v[28:31] offset:368
	flat_store_b128 v[52:53], v[24:27] offset:352
	s_clause 0x3
	flat_load_b64 v[7:8], v[64:65] offset:1148
	flat_load_b64 v[9:10], v[64:65] offset:1164
	flat_load_b128 v[0:3], v[64:65] offset:1176
	flat_load_b96 v[4:6], v[64:65] offset:1132
	s_wait_loadcnt_dscnt 0x202
	v_sub_nc_u32_e32 v7, v7, v10
	s_wait_loadcnt_dscnt 0x101
	v_add_nc_u32_e32 v0, v9, v0
	s_wait_loadcnt_dscnt 0x0
	v_sub_nc_u32_e32 v2, v4, v2
	v_add3_u32 v1, v7, v1, 0x60
	v_sub_nc_u32_e32 v7, v8, v9
	v_sub_nc_u32_e32 v8, v8, v0
	s_delay_alu instid0(VALU_DEP_3) | instskip(NEXT) | instid1(VALU_DEP_1)
	v_ashrrev_i32_e32 v10, 31, v1
	v_lshrrev_b32_e32 v10, 29, v10
	s_delay_alu instid0(VALU_DEP_1) | instskip(NEXT) | instid1(VALU_DEP_1)
	v_add_nc_u32_e32 v10, v1, v10
	v_and_b32_e32 v10, -8, v10
	s_delay_alu instid0(VALU_DEP_1) | instskip(SKIP_1) | instid1(VALU_DEP_2)
	v_sub_nc_u32_e32 v12, v1, v10
	v_sub_nc_u32_e32 v1, v1, v6
	v_xor_b32_e32 v7, v12, v7
	s_delay_alu instid0(VALU_DEP_2) | instskip(NEXT) | instid1(VALU_DEP_2)
	v_lshlrev_b32_e32 v1, 7, v1
	v_sub_nc_u32_e32 v6, v7, v5
	s_delay_alu instid0(VALU_DEP_2) | instskip(NEXT) | instid1(VALU_DEP_2)
	v_add_nc_u32_e32 v2, v2, v1
	v_lshlrev_b32_e32 v6, 4, v6
	s_delay_alu instid0(VALU_DEP_1)
	v_add3_u32 v10, v1, v4, v6
	flat_load_b64 v[6:7], v[54:55]
	v_ashrrev_i32_e32 v11, 31, v10
	s_wait_loadcnt_dscnt 0x0
	v_add_co_u32 v10, vcc_lo, v6, v10
	s_wait_alu 0xfffd
	s_delay_alu instid0(VALU_DEP_2) | instskip(SKIP_2) | instid1(VALU_DEP_1)
	v_add_co_ci_u32_e64 v11, null, v7, v11, vcc_lo
	flat_load_b128 v[98:101], v[10:11]
	v_add_nc_u32_e32 v10, 16, v3
	v_ashrrev_i32_e32 v11, 31, v10
	s_delay_alu instid0(VALU_DEP_1) | instskip(NEXT) | instid1(VALU_DEP_1)
	v_lshrrev_b32_e32 v11, 28, v11
	v_add_nc_u32_e32 v11, v10, v11
	s_delay_alu instid0(VALU_DEP_1) | instskip(SKIP_1) | instid1(VALU_DEP_2)
	v_lshrrev_b32_e32 v13, 4, v11
	v_and_b32_e32 v11, -16, v11
	v_add_nc_u32_e32 v0, v13, v8
	s_delay_alu instid0(VALU_DEP_2) | instskip(NEXT) | instid1(VALU_DEP_2)
	v_sub_nc_u32_e32 v10, v10, v11
	v_xor_b32_e32 v0, v0, v12
	s_delay_alu instid0(VALU_DEP_1) | instskip(NEXT) | instid1(VALU_DEP_1)
	v_sub_nc_u32_e32 v0, v0, v5
	v_lshlrev_b32_e32 v0, 4, v0
	s_delay_alu instid0(VALU_DEP_1) | instskip(NEXT) | instid1(VALU_DEP_1)
	v_add3_u32 v0, v10, v2, v0
	v_ashrrev_i32_e32 v1, 31, v0
	v_add_co_u32 v0, vcc_lo, v6, v0
	s_wait_alu 0xfffd
	s_delay_alu instid0(VALU_DEP_2) | instskip(SKIP_2) | instid1(VALU_DEP_1)
	v_add_co_ci_u32_e64 v1, null, v7, v1, vcc_lo
	flat_load_b128 v[112:115], v[0:1]
	v_add_nc_u32_e32 v0, 64, v3
	v_ashrrev_i32_e32 v1, 31, v0
	s_delay_alu instid0(VALU_DEP_1) | instskip(NEXT) | instid1(VALU_DEP_1)
	v_lshrrev_b32_e32 v1, 28, v1
	v_add_nc_u32_e32 v1, v0, v1
	s_delay_alu instid0(VALU_DEP_1) | instskip(SKIP_1) | instid1(VALU_DEP_1)
	v_lshrrev_b32_e32 v4, 4, v1
	v_and_b32_e32 v1, -16, v1
	v_sub_nc_u32_e32 v0, v0, v1
	s_delay_alu instid0(VALU_DEP_3) | instskip(NEXT) | instid1(VALU_DEP_1)
	v_add_nc_u32_e32 v1, v4, v8
	v_xor_b32_e32 v1, v1, v12
	s_delay_alu instid0(VALU_DEP_1) | instskip(NEXT) | instid1(VALU_DEP_1)
	v_sub_nc_u32_e32 v1, v1, v5
	v_lshlrev_b32_e32 v1, 4, v1
	s_delay_alu instid0(VALU_DEP_1) | instskip(NEXT) | instid1(VALU_DEP_1)
	v_add3_u32 v0, v0, v2, v1
	v_ashrrev_i32_e32 v1, 31, v0
	v_add_co_u32 v0, vcc_lo, v6, v0
	s_wait_alu 0xfffd
	s_delay_alu instid0(VALU_DEP_2) | instskip(SKIP_2) | instid1(VALU_DEP_1)
	v_add_co_ci_u32_e64 v1, null, v7, v1, vcc_lo
	flat_load_b128 v[116:119], v[0:1]
	v_add_nc_u32_e32 v0, 0x50, v3
	v_ashrrev_i32_e32 v1, 31, v0
	s_delay_alu instid0(VALU_DEP_1) | instskip(NEXT) | instid1(VALU_DEP_1)
	v_lshrrev_b32_e32 v1, 28, v1
	v_add_nc_u32_e32 v1, v0, v1
	s_delay_alu instid0(VALU_DEP_1) | instskip(SKIP_1) | instid1(VALU_DEP_1)
	v_lshrrev_b32_e32 v3, 4, v1
	v_and_b32_e32 v1, -16, v1
	v_sub_nc_u32_e32 v0, v0, v1
	s_delay_alu instid0(VALU_DEP_3) | instskip(SKIP_1) | instid1(VALU_DEP_2)
	v_add_nc_u32_e32 v1, v3, v8
	v_mov_b32_e32 v3, s13
	v_xor_b32_e32 v1, v1, v12
	s_delay_alu instid0(VALU_DEP_1) | instskip(NEXT) | instid1(VALU_DEP_1)
	v_sub_nc_u32_e32 v1, v1, v5
	v_lshlrev_b32_e32 v1, 4, v1
	s_delay_alu instid0(VALU_DEP_1) | instskip(SKIP_2) | instid1(VALU_DEP_2)
	v_add3_u32 v0, v0, v2, v1
	s_wait_alu 0xfffe
	v_mov_b32_e32 v2, s3
	v_ashrrev_i32_e32 v1, 31, v0
	v_add_co_u32 v0, vcc_lo, v6, v0
	s_wait_alu 0xfffd
	s_delay_alu instid0(VALU_DEP_2)
	v_add_co_ci_u32_e64 v1, null, v7, v1, vcc_lo
	flat_load_b128 v[128:131], v[0:1]
	v_dual_mov_b32 v0, s33 :: v_dual_mov_b32 v1, s13
	s_swappc_b64 s[30:31], s[0:1]
	; sched_group_barrier mask(0x00000008) size(3) SyncID(0)
	; sched_group_barrier mask(0x00000020) size(1) SyncID(0)
	;; [unrolled: 1-line block ×24, first 2 shown]
	; sched_barrier mask(0x00000000)
	scratch_load_b128 v[6:9], off, s33 offset:512
	flat_load_b128 v[0:3], v[52:53] offset:384
	s_clause 0x6
	scratch_load_b128 v[10:13], off, s33 offset:528
	scratch_load_b128 v[16:19], off, s33 offset:576
	;; [unrolled: 1-line block ×7, first 2 shown]
	s_add_co_i32 s3, s33, 0x200
	s_wait_loadcnt 0x8
	v_perm_b32 v15, v7, v7, 0x3020104
	v_perm_b32 v14, v6, v6, 0x3020504
	flat_load_b128 v[4:7], v[52:53] offset:400
	s_wait_loadcnt_dscnt 0x0
	v_wmma_f32_16x16x16_fp8_fp8 v[0:7], v[98:99], v[14:15], v[0:7]
	s_delay_alu instid0(VALU_DEP_1) | instskip(NEXT) | instid1(VALU_DEP_1)
	v_wmma_f32_16x16x16_fp8_fp8 v[0:7], v[100:101], v[8:9], v[0:7]
	v_wmma_f32_16x16x16_fp8_fp8 v[0:7], v[112:113], v[10:11], v[0:7]
	flat_load_b128 v[8:11], v[52:53] offset:416
	v_wmma_f32_16x16x16_fp8_fp8 v[0:7], v[114:115], v[12:13], v[0:7]
	flat_load_b128 v[12:15], v[52:53] offset:432
	s_wait_loadcnt_dscnt 0x0
	v_wmma_f32_16x16x16_fp8_fp8 v[8:15], v[98:99], v[16:17], v[8:15]
	s_delay_alu instid0(VALU_DEP_1) | instskip(SKIP_2) | instid1(VALU_DEP_1)
	v_wmma_f32_16x16x16_fp8_fp8 v[8:15], v[100:101], v[18:19], v[8:15]
	flat_load_b128 v[16:19], v[52:53] offset:448
	v_wmma_f32_16x16x16_fp8_fp8 v[8:15], v[112:113], v[20:21], v[8:15]
	v_wmma_f32_16x16x16_fp8_fp8 v[8:15], v[114:115], v[22:23], v[8:15]
	flat_load_b128 v[20:23], v[52:53] offset:464
	s_wait_loadcnt_dscnt 0x0
	v_wmma_f32_16x16x16_fp8_fp8 v[16:23], v[98:99], v[24:25], v[16:23]
	s_delay_alu instid0(VALU_DEP_1) | instskip(SKIP_2) | instid1(VALU_DEP_1)
	v_wmma_f32_16x16x16_fp8_fp8 v[16:23], v[100:101], v[26:27], v[16:23]
	flat_load_b128 v[24:27], v[52:53] offset:480
	v_wmma_f32_16x16x16_fp8_fp8 v[16:23], v[112:113], v[28:29], v[16:23]
	v_wmma_f32_16x16x16_fp8_fp8 v[16:23], v[114:115], v[30:31], v[16:23]
	flat_load_b128 v[28:31], v[52:53] offset:496
	s_wait_loadcnt_dscnt 0x0
	v_wmma_f32_16x16x16_fp8_fp8 v[24:31], v[98:99], v[32:33], v[24:31]
	s_delay_alu instid0(VALU_DEP_1) | instskip(SKIP_2) | instid1(VALU_DEP_1)
	v_wmma_f32_16x16x16_fp8_fp8 v[24:31], v[100:101], v[34:35], v[24:31]
	scratch_load_b128 v[32:35], off, s33 offset:544
	v_wmma_f32_16x16x16_fp8_fp8 v[24:31], v[112:113], v[36:37], v[24:31]
	v_wmma_f32_16x16x16_fp8_fp8 v[24:31], v[114:115], v[38:39], v[24:31]
	scratch_load_b128 v[36:39], off, s33 offset:560
	s_wait_loadcnt 0x1
	v_wmma_f32_16x16x16_fp8_fp8 v[0:7], v[116:117], v[32:33], v[0:7]
	s_delay_alu instid0(VALU_DEP_1) | instskip(SKIP_1) | instid1(VALU_DEP_1)
	v_wmma_f32_16x16x16_fp8_fp8 v[0:7], v[118:119], v[34:35], v[0:7]
	s_wait_loadcnt 0x0
	v_wmma_f32_16x16x16_fp8_fp8 v[0:7], v[128:129], v[36:37], v[0:7]
	s_delay_alu instid0(VALU_DEP_1)
	v_wmma_f32_16x16x16_fp8_fp8 v[0:7], v[130:131], v[38:39], v[0:7]
	flat_store_b128 v[52:53], v[0:3] offset:384
	scratch_load_b128 v[0:3], off, s33 offset:608
	flat_store_b128 v[52:53], v[4:7] offset:400
	scratch_load_b128 v[4:7], off, s33 offset:624
	s_wait_loadcnt 0x1
	v_nop
	v_wmma_f32_16x16x16_fp8_fp8 v[8:15], v[116:117], v[0:1], v[8:15]
	s_delay_alu instid0(VALU_DEP_1) | instskip(SKIP_3) | instid1(VALU_DEP_1)
	v_wmma_f32_16x16x16_fp8_fp8 v[8:15], v[118:119], v[2:3], v[8:15]
	scratch_load_b128 v[0:3], off, s33 offset:672
	s_wait_loadcnt 0x1
	v_wmma_f32_16x16x16_fp8_fp8 v[8:15], v[128:129], v[4:5], v[8:15]
	v_wmma_f32_16x16x16_fp8_fp8 v[8:15], v[130:131], v[6:7], v[8:15]
	scratch_load_b128 v[4:7], off, s33 offset:688
	s_clause 0x1
	flat_store_b128 v[52:53], v[8:11] offset:416
	flat_store_b128 v[52:53], v[12:15] offset:432
	s_wait_loadcnt 0x1
	v_wmma_f32_16x16x16_fp8_fp8 v[16:23], v[116:117], v[0:1], v[16:23]
	s_delay_alu instid0(VALU_DEP_1) | instskip(SKIP_3) | instid1(VALU_DEP_1)
	v_wmma_f32_16x16x16_fp8_fp8 v[16:23], v[118:119], v[2:3], v[16:23]
	scratch_load_b128 v[0:3], off, s33 offset:736
	s_wait_loadcnt 0x1
	v_wmma_f32_16x16x16_fp8_fp8 v[16:23], v[128:129], v[4:5], v[16:23]
	v_wmma_f32_16x16x16_fp8_fp8 v[16:23], v[130:131], v[6:7], v[16:23]
	scratch_load_b128 v[4:7], off, s33 offset:752
	s_clause 0x1
	flat_store_b128 v[52:53], v[20:23] offset:464
	flat_store_b128 v[52:53], v[16:19] offset:448
	s_wait_loadcnt 0x1
	v_wmma_f32_16x16x16_fp8_fp8 v[24:31], v[116:117], v[0:1], v[24:31]
	s_delay_alu instid0(VALU_DEP_1) | instskip(SKIP_1) | instid1(VALU_DEP_1)
	v_wmma_f32_16x16x16_fp8_fp8 v[24:31], v[118:119], v[2:3], v[24:31]
	s_wait_loadcnt 0x0
	v_wmma_f32_16x16x16_fp8_fp8 v[24:31], v[128:129], v[4:5], v[24:31]
	s_delay_alu instid0(VALU_DEP_1)
	v_wmma_f32_16x16x16_fp8_fp8 v[24:31], v[130:131], v[6:7], v[24:31]
	s_clause 0x1
	flat_store_b128 v[52:53], v[28:31] offset:496
	flat_store_b128 v[52:53], v[24:27] offset:480
	s_clause 0x3
	flat_load_b64 v[7:8], v[64:65] offset:1148
	flat_load_b64 v[9:10], v[64:65] offset:1164
	flat_load_b128 v[0:3], v[64:65] offset:1176
	flat_load_b96 v[4:6], v[64:65] offset:1132
	s_wait_loadcnt_dscnt 0x202
	v_sub_nc_u32_e32 v7, v7, v10
	s_wait_loadcnt_dscnt 0x101
	v_add_nc_u32_e32 v0, v9, v0
	s_wait_loadcnt_dscnt 0x0
	v_sub_nc_u32_e32 v2, v4, v2
	v_add3_u32 v1, v7, v1, 0x80
	v_sub_nc_u32_e32 v7, v8, v9
	v_sub_nc_u32_e32 v8, v8, v0
	s_delay_alu instid0(VALU_DEP_3) | instskip(NEXT) | instid1(VALU_DEP_1)
	v_ashrrev_i32_e32 v10, 31, v1
	v_lshrrev_b32_e32 v10, 29, v10
	s_delay_alu instid0(VALU_DEP_1) | instskip(NEXT) | instid1(VALU_DEP_1)
	v_add_nc_u32_e32 v10, v1, v10
	v_and_b32_e32 v10, -8, v10
	s_delay_alu instid0(VALU_DEP_1) | instskip(SKIP_1) | instid1(VALU_DEP_2)
	v_sub_nc_u32_e32 v12, v1, v10
	v_sub_nc_u32_e32 v1, v1, v6
	v_xor_b32_e32 v7, v12, v7
	s_delay_alu instid0(VALU_DEP_2) | instskip(NEXT) | instid1(VALU_DEP_2)
	v_lshlrev_b32_e32 v1, 7, v1
	v_sub_nc_u32_e32 v6, v7, v5
	s_delay_alu instid0(VALU_DEP_2) | instskip(NEXT) | instid1(VALU_DEP_2)
	v_add_nc_u32_e32 v2, v2, v1
	v_lshlrev_b32_e32 v6, 4, v6
	s_delay_alu instid0(VALU_DEP_1)
	v_add3_u32 v10, v1, v4, v6
	flat_load_b64 v[6:7], v[54:55]
	v_ashrrev_i32_e32 v11, 31, v10
	s_wait_loadcnt_dscnt 0x0
	v_add_co_u32 v10, vcc_lo, v6, v10
	s_wait_alu 0xfffd
	s_delay_alu instid0(VALU_DEP_2) | instskip(SKIP_2) | instid1(VALU_DEP_1)
	v_add_co_ci_u32_e64 v11, null, v7, v11, vcc_lo
	flat_load_b128 v[98:101], v[10:11]
	v_add_nc_u32_e32 v10, 16, v3
	v_ashrrev_i32_e32 v11, 31, v10
	s_delay_alu instid0(VALU_DEP_1) | instskip(NEXT) | instid1(VALU_DEP_1)
	v_lshrrev_b32_e32 v11, 28, v11
	v_add_nc_u32_e32 v11, v10, v11
	s_delay_alu instid0(VALU_DEP_1) | instskip(SKIP_1) | instid1(VALU_DEP_2)
	v_lshrrev_b32_e32 v13, 4, v11
	v_and_b32_e32 v11, -16, v11
	v_add_nc_u32_e32 v0, v13, v8
	s_delay_alu instid0(VALU_DEP_2) | instskip(NEXT) | instid1(VALU_DEP_2)
	v_sub_nc_u32_e32 v10, v10, v11
	v_xor_b32_e32 v0, v0, v12
	s_delay_alu instid0(VALU_DEP_1) | instskip(NEXT) | instid1(VALU_DEP_1)
	v_sub_nc_u32_e32 v0, v0, v5
	v_lshlrev_b32_e32 v0, 4, v0
	s_delay_alu instid0(VALU_DEP_1) | instskip(NEXT) | instid1(VALU_DEP_1)
	v_add3_u32 v0, v10, v2, v0
	v_ashrrev_i32_e32 v1, 31, v0
	v_add_co_u32 v0, vcc_lo, v6, v0
	s_wait_alu 0xfffd
	s_delay_alu instid0(VALU_DEP_2) | instskip(SKIP_2) | instid1(VALU_DEP_1)
	v_add_co_ci_u32_e64 v1, null, v7, v1, vcc_lo
	flat_load_b128 v[112:115], v[0:1]
	v_add_nc_u32_e32 v0, 64, v3
	v_ashrrev_i32_e32 v1, 31, v0
	s_delay_alu instid0(VALU_DEP_1) | instskip(NEXT) | instid1(VALU_DEP_1)
	v_lshrrev_b32_e32 v1, 28, v1
	v_add_nc_u32_e32 v1, v0, v1
	s_delay_alu instid0(VALU_DEP_1) | instskip(SKIP_1) | instid1(VALU_DEP_1)
	v_lshrrev_b32_e32 v4, 4, v1
	v_and_b32_e32 v1, -16, v1
	v_sub_nc_u32_e32 v0, v0, v1
	s_delay_alu instid0(VALU_DEP_3) | instskip(NEXT) | instid1(VALU_DEP_1)
	v_add_nc_u32_e32 v1, v4, v8
	v_xor_b32_e32 v1, v1, v12
	s_delay_alu instid0(VALU_DEP_1) | instskip(NEXT) | instid1(VALU_DEP_1)
	v_sub_nc_u32_e32 v1, v1, v5
	v_lshlrev_b32_e32 v1, 4, v1
	s_delay_alu instid0(VALU_DEP_1) | instskip(NEXT) | instid1(VALU_DEP_1)
	v_add3_u32 v0, v0, v2, v1
	v_ashrrev_i32_e32 v1, 31, v0
	v_add_co_u32 v0, vcc_lo, v6, v0
	s_wait_alu 0xfffd
	s_delay_alu instid0(VALU_DEP_2) | instskip(SKIP_2) | instid1(VALU_DEP_1)
	v_add_co_ci_u32_e64 v1, null, v7, v1, vcc_lo
	flat_load_b128 v[116:119], v[0:1]
	v_add_nc_u32_e32 v0, 0x50, v3
	v_ashrrev_i32_e32 v1, 31, v0
	s_delay_alu instid0(VALU_DEP_1) | instskip(NEXT) | instid1(VALU_DEP_1)
	v_lshrrev_b32_e32 v1, 28, v1
	v_add_nc_u32_e32 v1, v0, v1
	s_delay_alu instid0(VALU_DEP_1) | instskip(SKIP_1) | instid1(VALU_DEP_1)
	v_lshrrev_b32_e32 v3, 4, v1
	v_and_b32_e32 v1, -16, v1
	v_sub_nc_u32_e32 v0, v0, v1
	s_delay_alu instid0(VALU_DEP_3) | instskip(SKIP_1) | instid1(VALU_DEP_2)
	v_add_nc_u32_e32 v1, v3, v8
	v_mov_b32_e32 v3, s13
	v_xor_b32_e32 v1, v1, v12
	s_delay_alu instid0(VALU_DEP_1) | instskip(NEXT) | instid1(VALU_DEP_1)
	v_sub_nc_u32_e32 v1, v1, v5
	v_lshlrev_b32_e32 v1, 4, v1
	s_delay_alu instid0(VALU_DEP_1) | instskip(SKIP_2) | instid1(VALU_DEP_2)
	v_add3_u32 v0, v0, v2, v1
	s_wait_alu 0xfffe
	v_mov_b32_e32 v2, s3
	v_ashrrev_i32_e32 v1, 31, v0
	v_add_co_u32 v0, vcc_lo, v6, v0
	s_wait_alu 0xfffd
	s_delay_alu instid0(VALU_DEP_2)
	v_add_co_ci_u32_e64 v1, null, v7, v1, vcc_lo
	flat_load_b128 v[128:131], v[0:1]
	v_dual_mov_b32 v0, s33 :: v_dual_mov_b32 v1, s13
	s_swappc_b64 s[30:31], s[0:1]
	; sched_group_barrier mask(0x00000008) size(8) SyncID(0)
	; sched_group_barrier mask(0x00000100) size(1) SyncID(0)
	; sched_group_barrier mask(0x00000008) size(8) SyncID(0)
	; sched_group_barrier mask(0x00000100) size(1) SyncID(0)
	; sched_group_barrier mask(0x00000008) size(8) SyncID(0)
	; sched_group_barrier mask(0x00000100) size(1) SyncID(0)
	; sched_group_barrier mask(0x00000008) size(8) SyncID(0)
	; sched_group_barrier mask(0x00000100) size(1) SyncID(0)
	; sched_barrier mask(0x00000000)
	scratch_load_b128 v[6:9], off, s33 offset:512
	flat_load_b128 v[0:3], v[52:53] offset:512
	s_clause 0x6
	scratch_load_b128 v[10:13], off, s33 offset:528
	scratch_load_b128 v[16:19], off, s33 offset:576
	;; [unrolled: 1-line block ×7, first 2 shown]
	s_add_co_i32 s3, s33, 0x200
	s_wait_loadcnt 0x8
	v_perm_b32 v15, v7, v7, 0x3020104
	v_perm_b32 v14, v6, v6, 0x3020504
	flat_load_b128 v[4:7], v[52:53] offset:528
	s_wait_loadcnt_dscnt 0x0
	v_wmma_f32_16x16x16_fp8_fp8 v[0:7], v[98:99], v[14:15], v[0:7]
	s_delay_alu instid0(VALU_DEP_1) | instskip(NEXT) | instid1(VALU_DEP_1)
	v_wmma_f32_16x16x16_fp8_fp8 v[0:7], v[100:101], v[8:9], v[0:7]
	v_wmma_f32_16x16x16_fp8_fp8 v[0:7], v[112:113], v[10:11], v[0:7]
	flat_load_b128 v[8:11], v[52:53] offset:544
	v_wmma_f32_16x16x16_fp8_fp8 v[0:7], v[114:115], v[12:13], v[0:7]
	flat_load_b128 v[12:15], v[52:53] offset:560
	s_wait_loadcnt_dscnt 0x0
	v_wmma_f32_16x16x16_fp8_fp8 v[8:15], v[98:99], v[16:17], v[8:15]
	s_delay_alu instid0(VALU_DEP_1) | instskip(SKIP_2) | instid1(VALU_DEP_1)
	v_wmma_f32_16x16x16_fp8_fp8 v[8:15], v[100:101], v[18:19], v[8:15]
	flat_load_b128 v[16:19], v[52:53] offset:576
	v_wmma_f32_16x16x16_fp8_fp8 v[8:15], v[112:113], v[20:21], v[8:15]
	v_wmma_f32_16x16x16_fp8_fp8 v[8:15], v[114:115], v[22:23], v[8:15]
	flat_load_b128 v[20:23], v[52:53] offset:592
	s_wait_loadcnt_dscnt 0x0
	v_wmma_f32_16x16x16_fp8_fp8 v[16:23], v[98:99], v[24:25], v[16:23]
	s_delay_alu instid0(VALU_DEP_1) | instskip(SKIP_2) | instid1(VALU_DEP_1)
	v_wmma_f32_16x16x16_fp8_fp8 v[16:23], v[100:101], v[26:27], v[16:23]
	flat_load_b128 v[24:27], v[52:53] offset:608
	v_wmma_f32_16x16x16_fp8_fp8 v[16:23], v[112:113], v[28:29], v[16:23]
	v_wmma_f32_16x16x16_fp8_fp8 v[16:23], v[114:115], v[30:31], v[16:23]
	flat_load_b128 v[28:31], v[52:53] offset:624
	s_wait_loadcnt_dscnt 0x0
	v_wmma_f32_16x16x16_fp8_fp8 v[24:31], v[98:99], v[32:33], v[24:31]
	s_delay_alu instid0(VALU_DEP_1) | instskip(SKIP_2) | instid1(VALU_DEP_1)
	v_wmma_f32_16x16x16_fp8_fp8 v[24:31], v[100:101], v[34:35], v[24:31]
	scratch_load_b128 v[32:35], off, s33 offset:544
	v_wmma_f32_16x16x16_fp8_fp8 v[24:31], v[112:113], v[36:37], v[24:31]
	v_wmma_f32_16x16x16_fp8_fp8 v[24:31], v[114:115], v[38:39], v[24:31]
	scratch_load_b128 v[36:39], off, s33 offset:560
	s_wait_loadcnt 0x1
	v_wmma_f32_16x16x16_fp8_fp8 v[0:7], v[116:117], v[32:33], v[0:7]
	s_delay_alu instid0(VALU_DEP_1) | instskip(SKIP_1) | instid1(VALU_DEP_1)
	v_wmma_f32_16x16x16_fp8_fp8 v[0:7], v[118:119], v[34:35], v[0:7]
	s_wait_loadcnt 0x0
	v_wmma_f32_16x16x16_fp8_fp8 v[0:7], v[128:129], v[36:37], v[0:7]
	s_delay_alu instid0(VALU_DEP_1)
	v_wmma_f32_16x16x16_fp8_fp8 v[0:7], v[130:131], v[38:39], v[0:7]
	flat_store_b128 v[52:53], v[0:3] offset:512
	scratch_load_b128 v[0:3], off, s33 offset:608
	flat_store_b128 v[52:53], v[4:7] offset:528
	scratch_load_b128 v[4:7], off, s33 offset:624
	s_wait_loadcnt 0x1
	v_nop
	v_wmma_f32_16x16x16_fp8_fp8 v[8:15], v[116:117], v[0:1], v[8:15]
	s_delay_alu instid0(VALU_DEP_1) | instskip(SKIP_3) | instid1(VALU_DEP_1)
	v_wmma_f32_16x16x16_fp8_fp8 v[8:15], v[118:119], v[2:3], v[8:15]
	scratch_load_b128 v[0:3], off, s33 offset:672
	s_wait_loadcnt 0x1
	v_wmma_f32_16x16x16_fp8_fp8 v[8:15], v[128:129], v[4:5], v[8:15]
	v_wmma_f32_16x16x16_fp8_fp8 v[8:15], v[130:131], v[6:7], v[8:15]
	scratch_load_b128 v[4:7], off, s33 offset:688
	s_clause 0x1
	flat_store_b128 v[52:53], v[8:11] offset:544
	flat_store_b128 v[52:53], v[12:15] offset:560
	s_wait_loadcnt 0x1
	v_wmma_f32_16x16x16_fp8_fp8 v[16:23], v[116:117], v[0:1], v[16:23]
	s_delay_alu instid0(VALU_DEP_1) | instskip(SKIP_3) | instid1(VALU_DEP_1)
	v_wmma_f32_16x16x16_fp8_fp8 v[16:23], v[118:119], v[2:3], v[16:23]
	scratch_load_b128 v[0:3], off, s33 offset:736
	s_wait_loadcnt 0x1
	v_wmma_f32_16x16x16_fp8_fp8 v[16:23], v[128:129], v[4:5], v[16:23]
	v_wmma_f32_16x16x16_fp8_fp8 v[16:23], v[130:131], v[6:7], v[16:23]
	scratch_load_b128 v[4:7], off, s33 offset:752
	s_clause 0x1
	flat_store_b128 v[52:53], v[20:23] offset:592
	flat_store_b128 v[52:53], v[16:19] offset:576
	s_wait_loadcnt 0x1
	v_wmma_f32_16x16x16_fp8_fp8 v[24:31], v[116:117], v[0:1], v[24:31]
	s_delay_alu instid0(VALU_DEP_1) | instskip(SKIP_1) | instid1(VALU_DEP_1)
	v_wmma_f32_16x16x16_fp8_fp8 v[24:31], v[118:119], v[2:3], v[24:31]
	s_wait_loadcnt 0x0
	v_wmma_f32_16x16x16_fp8_fp8 v[24:31], v[128:129], v[4:5], v[24:31]
	s_delay_alu instid0(VALU_DEP_1)
	v_wmma_f32_16x16x16_fp8_fp8 v[24:31], v[130:131], v[6:7], v[24:31]
	s_clause 0x1
	flat_store_b128 v[52:53], v[28:31] offset:624
	flat_store_b128 v[52:53], v[24:27] offset:608
	s_clause 0x3
	flat_load_b64 v[7:8], v[64:65] offset:1148
	flat_load_b64 v[9:10], v[64:65] offset:1164
	flat_load_b128 v[0:3], v[64:65] offset:1176
	flat_load_b96 v[4:6], v[64:65] offset:1132
	s_wait_loadcnt_dscnt 0x202
	v_sub_nc_u32_e32 v7, v7, v10
	s_wait_loadcnt_dscnt 0x101
	v_add_nc_u32_e32 v0, v9, v0
	s_wait_loadcnt_dscnt 0x0
	v_sub_nc_u32_e32 v2, v4, v2
	v_add3_u32 v1, v7, v1, 0xa0
	v_sub_nc_u32_e32 v7, v8, v9
	v_sub_nc_u32_e32 v8, v8, v0
	s_delay_alu instid0(VALU_DEP_3) | instskip(NEXT) | instid1(VALU_DEP_1)
	v_ashrrev_i32_e32 v10, 31, v1
	v_lshrrev_b32_e32 v10, 29, v10
	s_delay_alu instid0(VALU_DEP_1) | instskip(NEXT) | instid1(VALU_DEP_1)
	v_add_nc_u32_e32 v10, v1, v10
	v_and_b32_e32 v10, -8, v10
	s_delay_alu instid0(VALU_DEP_1) | instskip(SKIP_1) | instid1(VALU_DEP_2)
	v_sub_nc_u32_e32 v12, v1, v10
	v_sub_nc_u32_e32 v1, v1, v6
	v_xor_b32_e32 v7, v12, v7
	s_delay_alu instid0(VALU_DEP_2) | instskip(NEXT) | instid1(VALU_DEP_2)
	v_lshlrev_b32_e32 v1, 7, v1
	v_sub_nc_u32_e32 v6, v7, v5
	s_delay_alu instid0(VALU_DEP_2) | instskip(NEXT) | instid1(VALU_DEP_2)
	v_add_nc_u32_e32 v2, v2, v1
	v_lshlrev_b32_e32 v6, 4, v6
	s_delay_alu instid0(VALU_DEP_1)
	v_add3_u32 v10, v1, v4, v6
	flat_load_b64 v[6:7], v[54:55]
	v_ashrrev_i32_e32 v11, 31, v10
	s_wait_loadcnt_dscnt 0x0
	v_add_co_u32 v10, vcc_lo, v6, v10
	s_wait_alu 0xfffd
	s_delay_alu instid0(VALU_DEP_2) | instskip(SKIP_2) | instid1(VALU_DEP_1)
	v_add_co_ci_u32_e64 v11, null, v7, v11, vcc_lo
	flat_load_b128 v[98:101], v[10:11]
	v_add_nc_u32_e32 v10, 16, v3
	v_ashrrev_i32_e32 v11, 31, v10
	s_delay_alu instid0(VALU_DEP_1) | instskip(NEXT) | instid1(VALU_DEP_1)
	v_lshrrev_b32_e32 v11, 28, v11
	v_add_nc_u32_e32 v11, v10, v11
	s_delay_alu instid0(VALU_DEP_1) | instskip(SKIP_1) | instid1(VALU_DEP_2)
	v_lshrrev_b32_e32 v13, 4, v11
	v_and_b32_e32 v11, -16, v11
	v_add_nc_u32_e32 v0, v13, v8
	s_delay_alu instid0(VALU_DEP_2) | instskip(NEXT) | instid1(VALU_DEP_2)
	v_sub_nc_u32_e32 v10, v10, v11
	v_xor_b32_e32 v0, v0, v12
	s_delay_alu instid0(VALU_DEP_1) | instskip(NEXT) | instid1(VALU_DEP_1)
	v_sub_nc_u32_e32 v0, v0, v5
	v_lshlrev_b32_e32 v0, 4, v0
	s_delay_alu instid0(VALU_DEP_1) | instskip(NEXT) | instid1(VALU_DEP_1)
	v_add3_u32 v0, v10, v2, v0
	v_ashrrev_i32_e32 v1, 31, v0
	v_add_co_u32 v0, vcc_lo, v6, v0
	s_wait_alu 0xfffd
	s_delay_alu instid0(VALU_DEP_2) | instskip(SKIP_2) | instid1(VALU_DEP_1)
	v_add_co_ci_u32_e64 v1, null, v7, v1, vcc_lo
	flat_load_b128 v[112:115], v[0:1]
	v_add_nc_u32_e32 v0, 64, v3
	v_ashrrev_i32_e32 v1, 31, v0
	s_delay_alu instid0(VALU_DEP_1) | instskip(NEXT) | instid1(VALU_DEP_1)
	v_lshrrev_b32_e32 v1, 28, v1
	v_add_nc_u32_e32 v1, v0, v1
	s_delay_alu instid0(VALU_DEP_1) | instskip(SKIP_1) | instid1(VALU_DEP_1)
	v_lshrrev_b32_e32 v4, 4, v1
	v_and_b32_e32 v1, -16, v1
	v_sub_nc_u32_e32 v0, v0, v1
	s_delay_alu instid0(VALU_DEP_3) | instskip(NEXT) | instid1(VALU_DEP_1)
	v_add_nc_u32_e32 v1, v4, v8
	v_xor_b32_e32 v1, v1, v12
	s_delay_alu instid0(VALU_DEP_1) | instskip(NEXT) | instid1(VALU_DEP_1)
	v_sub_nc_u32_e32 v1, v1, v5
	v_lshlrev_b32_e32 v1, 4, v1
	s_delay_alu instid0(VALU_DEP_1) | instskip(NEXT) | instid1(VALU_DEP_1)
	v_add3_u32 v0, v0, v2, v1
	v_ashrrev_i32_e32 v1, 31, v0
	v_add_co_u32 v0, vcc_lo, v6, v0
	s_wait_alu 0xfffd
	s_delay_alu instid0(VALU_DEP_2) | instskip(SKIP_2) | instid1(VALU_DEP_1)
	v_add_co_ci_u32_e64 v1, null, v7, v1, vcc_lo
	flat_load_b128 v[116:119], v[0:1]
	v_add_nc_u32_e32 v0, 0x50, v3
	v_ashrrev_i32_e32 v1, 31, v0
	s_delay_alu instid0(VALU_DEP_1) | instskip(NEXT) | instid1(VALU_DEP_1)
	v_lshrrev_b32_e32 v1, 28, v1
	v_add_nc_u32_e32 v1, v0, v1
	s_delay_alu instid0(VALU_DEP_1) | instskip(SKIP_1) | instid1(VALU_DEP_1)
	v_lshrrev_b32_e32 v3, 4, v1
	v_and_b32_e32 v1, -16, v1
	v_sub_nc_u32_e32 v0, v0, v1
	s_delay_alu instid0(VALU_DEP_3) | instskip(SKIP_1) | instid1(VALU_DEP_2)
	v_add_nc_u32_e32 v1, v3, v8
	v_mov_b32_e32 v3, s13
	v_xor_b32_e32 v1, v1, v12
	s_delay_alu instid0(VALU_DEP_1) | instskip(NEXT) | instid1(VALU_DEP_1)
	v_sub_nc_u32_e32 v1, v1, v5
	v_lshlrev_b32_e32 v1, 4, v1
	s_delay_alu instid0(VALU_DEP_1) | instskip(SKIP_2) | instid1(VALU_DEP_2)
	v_add3_u32 v0, v0, v2, v1
	s_wait_alu 0xfffe
	v_mov_b32_e32 v2, s3
	v_ashrrev_i32_e32 v1, 31, v0
	v_add_co_u32 v0, vcc_lo, v6, v0
	s_wait_alu 0xfffd
	s_delay_alu instid0(VALU_DEP_2)
	v_add_co_ci_u32_e64 v1, null, v7, v1, vcc_lo
	flat_load_b128 v[128:131], v[0:1]
	v_dual_mov_b32 v0, s33 :: v_dual_mov_b32 v1, s13
	s_swappc_b64 s[30:31], s[0:1]
	; sched_group_barrier mask(0x00000008) size(8) SyncID(0)
	; sched_group_barrier mask(0x00000100) size(1) SyncID(0)
	;; [unrolled: 1-line block ×8, first 2 shown]
	; sched_barrier mask(0x00000000)
	scratch_load_b128 v[6:9], off, s33 offset:512
	flat_load_b128 v[0:3], v[52:53] offset:640
	s_clause 0x6
	scratch_load_b128 v[10:13], off, s33 offset:528
	scratch_load_b128 v[16:19], off, s33 offset:576
	;; [unrolled: 1-line block ×7, first 2 shown]
	s_add_co_i32 s3, s33, 0x200
	s_wait_loadcnt 0x8
	v_perm_b32 v15, v7, v7, 0x3020104
	v_perm_b32 v14, v6, v6, 0x3020504
	flat_load_b128 v[4:7], v[52:53] offset:656
	s_wait_loadcnt_dscnt 0x0
	v_wmma_f32_16x16x16_fp8_fp8 v[0:7], v[98:99], v[14:15], v[0:7]
	s_delay_alu instid0(VALU_DEP_1) | instskip(NEXT) | instid1(VALU_DEP_1)
	v_wmma_f32_16x16x16_fp8_fp8 v[0:7], v[100:101], v[8:9], v[0:7]
	v_wmma_f32_16x16x16_fp8_fp8 v[0:7], v[112:113], v[10:11], v[0:7]
	flat_load_b128 v[8:11], v[52:53] offset:672
	v_wmma_f32_16x16x16_fp8_fp8 v[0:7], v[114:115], v[12:13], v[0:7]
	flat_load_b128 v[12:15], v[52:53] offset:688
	s_wait_loadcnt_dscnt 0x0
	v_wmma_f32_16x16x16_fp8_fp8 v[8:15], v[98:99], v[16:17], v[8:15]
	s_delay_alu instid0(VALU_DEP_1) | instskip(SKIP_2) | instid1(VALU_DEP_1)
	v_wmma_f32_16x16x16_fp8_fp8 v[8:15], v[100:101], v[18:19], v[8:15]
	flat_load_b128 v[16:19], v[52:53] offset:704
	v_wmma_f32_16x16x16_fp8_fp8 v[8:15], v[112:113], v[20:21], v[8:15]
	v_wmma_f32_16x16x16_fp8_fp8 v[8:15], v[114:115], v[22:23], v[8:15]
	flat_load_b128 v[20:23], v[52:53] offset:720
	s_wait_loadcnt_dscnt 0x0
	v_wmma_f32_16x16x16_fp8_fp8 v[16:23], v[98:99], v[24:25], v[16:23]
	s_delay_alu instid0(VALU_DEP_1) | instskip(SKIP_2) | instid1(VALU_DEP_1)
	v_wmma_f32_16x16x16_fp8_fp8 v[16:23], v[100:101], v[26:27], v[16:23]
	flat_load_b128 v[24:27], v[52:53] offset:736
	v_wmma_f32_16x16x16_fp8_fp8 v[16:23], v[112:113], v[28:29], v[16:23]
	v_wmma_f32_16x16x16_fp8_fp8 v[16:23], v[114:115], v[30:31], v[16:23]
	flat_load_b128 v[28:31], v[52:53] offset:752
	s_wait_loadcnt_dscnt 0x0
	v_wmma_f32_16x16x16_fp8_fp8 v[24:31], v[98:99], v[32:33], v[24:31]
	s_delay_alu instid0(VALU_DEP_1) | instskip(SKIP_2) | instid1(VALU_DEP_1)
	v_wmma_f32_16x16x16_fp8_fp8 v[24:31], v[100:101], v[34:35], v[24:31]
	scratch_load_b128 v[32:35], off, s33 offset:544
	v_wmma_f32_16x16x16_fp8_fp8 v[24:31], v[112:113], v[36:37], v[24:31]
	v_wmma_f32_16x16x16_fp8_fp8 v[24:31], v[114:115], v[38:39], v[24:31]
	scratch_load_b128 v[36:39], off, s33 offset:560
	s_wait_loadcnt 0x1
	v_wmma_f32_16x16x16_fp8_fp8 v[0:7], v[116:117], v[32:33], v[0:7]
	s_delay_alu instid0(VALU_DEP_1) | instskip(SKIP_1) | instid1(VALU_DEP_1)
	v_wmma_f32_16x16x16_fp8_fp8 v[0:7], v[118:119], v[34:35], v[0:7]
	s_wait_loadcnt 0x0
	v_wmma_f32_16x16x16_fp8_fp8 v[0:7], v[128:129], v[36:37], v[0:7]
	s_delay_alu instid0(VALU_DEP_1)
	v_wmma_f32_16x16x16_fp8_fp8 v[0:7], v[130:131], v[38:39], v[0:7]
	flat_store_b128 v[52:53], v[0:3] offset:640
	scratch_load_b128 v[0:3], off, s33 offset:608
	flat_store_b128 v[52:53], v[4:7] offset:656
	scratch_load_b128 v[4:7], off, s33 offset:624
	s_wait_loadcnt 0x1
	v_nop
	v_wmma_f32_16x16x16_fp8_fp8 v[8:15], v[116:117], v[0:1], v[8:15]
	s_delay_alu instid0(VALU_DEP_1) | instskip(SKIP_3) | instid1(VALU_DEP_1)
	v_wmma_f32_16x16x16_fp8_fp8 v[8:15], v[118:119], v[2:3], v[8:15]
	scratch_load_b128 v[0:3], off, s33 offset:672
	s_wait_loadcnt 0x1
	v_wmma_f32_16x16x16_fp8_fp8 v[8:15], v[128:129], v[4:5], v[8:15]
	v_wmma_f32_16x16x16_fp8_fp8 v[8:15], v[130:131], v[6:7], v[8:15]
	scratch_load_b128 v[4:7], off, s33 offset:688
	s_clause 0x1
	flat_store_b128 v[52:53], v[8:11] offset:672
	flat_store_b128 v[52:53], v[12:15] offset:688
	s_wait_loadcnt 0x1
	v_wmma_f32_16x16x16_fp8_fp8 v[16:23], v[116:117], v[0:1], v[16:23]
	s_delay_alu instid0(VALU_DEP_1) | instskip(SKIP_3) | instid1(VALU_DEP_1)
	v_wmma_f32_16x16x16_fp8_fp8 v[16:23], v[118:119], v[2:3], v[16:23]
	scratch_load_b128 v[0:3], off, s33 offset:736
	s_wait_loadcnt 0x1
	v_wmma_f32_16x16x16_fp8_fp8 v[16:23], v[128:129], v[4:5], v[16:23]
	v_wmma_f32_16x16x16_fp8_fp8 v[16:23], v[130:131], v[6:7], v[16:23]
	scratch_load_b128 v[4:7], off, s33 offset:752
	s_clause 0x1
	flat_store_b128 v[52:53], v[20:23] offset:720
	flat_store_b128 v[52:53], v[16:19] offset:704
	s_wait_loadcnt 0x1
	v_wmma_f32_16x16x16_fp8_fp8 v[24:31], v[116:117], v[0:1], v[24:31]
	s_delay_alu instid0(VALU_DEP_1) | instskip(SKIP_1) | instid1(VALU_DEP_1)
	v_wmma_f32_16x16x16_fp8_fp8 v[24:31], v[118:119], v[2:3], v[24:31]
	s_wait_loadcnt 0x0
	v_wmma_f32_16x16x16_fp8_fp8 v[24:31], v[128:129], v[4:5], v[24:31]
	s_delay_alu instid0(VALU_DEP_1)
	v_wmma_f32_16x16x16_fp8_fp8 v[24:31], v[130:131], v[6:7], v[24:31]
	s_clause 0x1
	flat_store_b128 v[52:53], v[28:31] offset:752
	flat_store_b128 v[52:53], v[24:27] offset:736
	s_clause 0x3
	flat_load_b64 v[7:8], v[64:65] offset:1148
	flat_load_b64 v[9:10], v[64:65] offset:1164
	flat_load_b128 v[0:3], v[64:65] offset:1176
	flat_load_b96 v[4:6], v[64:65] offset:1132
	s_wait_loadcnt_dscnt 0x202
	v_sub_nc_u32_e32 v7, v7, v10
	s_wait_loadcnt_dscnt 0x101
	v_add_nc_u32_e32 v0, v9, v0
	s_wait_loadcnt_dscnt 0x0
	v_sub_nc_u32_e32 v2, v4, v2
	v_add3_u32 v1, v7, v1, 0xc0
	v_sub_nc_u32_e32 v7, v8, v9
	v_sub_nc_u32_e32 v8, v8, v0
	s_delay_alu instid0(VALU_DEP_3) | instskip(NEXT) | instid1(VALU_DEP_1)
	v_ashrrev_i32_e32 v10, 31, v1
	v_lshrrev_b32_e32 v10, 29, v10
	s_delay_alu instid0(VALU_DEP_1) | instskip(NEXT) | instid1(VALU_DEP_1)
	v_add_nc_u32_e32 v10, v1, v10
	v_and_b32_e32 v10, -8, v10
	s_delay_alu instid0(VALU_DEP_1) | instskip(SKIP_1) | instid1(VALU_DEP_2)
	v_sub_nc_u32_e32 v12, v1, v10
	v_sub_nc_u32_e32 v1, v1, v6
	v_xor_b32_e32 v7, v12, v7
	s_delay_alu instid0(VALU_DEP_2) | instskip(NEXT) | instid1(VALU_DEP_2)
	v_lshlrev_b32_e32 v1, 7, v1
	v_sub_nc_u32_e32 v6, v7, v5
	s_delay_alu instid0(VALU_DEP_2) | instskip(NEXT) | instid1(VALU_DEP_2)
	v_add_nc_u32_e32 v2, v2, v1
	v_lshlrev_b32_e32 v6, 4, v6
	s_delay_alu instid0(VALU_DEP_1)
	v_add3_u32 v10, v1, v4, v6
	flat_load_b64 v[6:7], v[54:55]
	v_ashrrev_i32_e32 v11, 31, v10
	s_wait_loadcnt_dscnt 0x0
	v_add_co_u32 v10, vcc_lo, v6, v10
	s_wait_alu 0xfffd
	s_delay_alu instid0(VALU_DEP_2) | instskip(SKIP_2) | instid1(VALU_DEP_1)
	v_add_co_ci_u32_e64 v11, null, v7, v11, vcc_lo
	flat_load_b128 v[98:101], v[10:11]
	v_add_nc_u32_e32 v10, 16, v3
	v_ashrrev_i32_e32 v11, 31, v10
	s_delay_alu instid0(VALU_DEP_1) | instskip(NEXT) | instid1(VALU_DEP_1)
	v_lshrrev_b32_e32 v11, 28, v11
	v_add_nc_u32_e32 v11, v10, v11
	s_delay_alu instid0(VALU_DEP_1) | instskip(SKIP_1) | instid1(VALU_DEP_2)
	v_lshrrev_b32_e32 v13, 4, v11
	v_and_b32_e32 v11, -16, v11
	v_add_nc_u32_e32 v0, v13, v8
	s_delay_alu instid0(VALU_DEP_2) | instskip(NEXT) | instid1(VALU_DEP_2)
	v_sub_nc_u32_e32 v10, v10, v11
	v_xor_b32_e32 v0, v0, v12
	s_delay_alu instid0(VALU_DEP_1) | instskip(NEXT) | instid1(VALU_DEP_1)
	v_sub_nc_u32_e32 v0, v0, v5
	v_lshlrev_b32_e32 v0, 4, v0
	s_delay_alu instid0(VALU_DEP_1) | instskip(NEXT) | instid1(VALU_DEP_1)
	v_add3_u32 v0, v10, v2, v0
	v_ashrrev_i32_e32 v1, 31, v0
	v_add_co_u32 v0, vcc_lo, v6, v0
	s_wait_alu 0xfffd
	s_delay_alu instid0(VALU_DEP_2) | instskip(SKIP_2) | instid1(VALU_DEP_1)
	v_add_co_ci_u32_e64 v1, null, v7, v1, vcc_lo
	flat_load_b128 v[112:115], v[0:1]
	v_add_nc_u32_e32 v0, 64, v3
	v_ashrrev_i32_e32 v1, 31, v0
	s_delay_alu instid0(VALU_DEP_1) | instskip(NEXT) | instid1(VALU_DEP_1)
	v_lshrrev_b32_e32 v1, 28, v1
	v_add_nc_u32_e32 v1, v0, v1
	s_delay_alu instid0(VALU_DEP_1) | instskip(SKIP_1) | instid1(VALU_DEP_1)
	v_lshrrev_b32_e32 v4, 4, v1
	v_and_b32_e32 v1, -16, v1
	v_sub_nc_u32_e32 v0, v0, v1
	s_delay_alu instid0(VALU_DEP_3) | instskip(NEXT) | instid1(VALU_DEP_1)
	v_add_nc_u32_e32 v1, v4, v8
	v_xor_b32_e32 v1, v1, v12
	s_delay_alu instid0(VALU_DEP_1) | instskip(NEXT) | instid1(VALU_DEP_1)
	v_sub_nc_u32_e32 v1, v1, v5
	v_lshlrev_b32_e32 v1, 4, v1
	s_delay_alu instid0(VALU_DEP_1) | instskip(NEXT) | instid1(VALU_DEP_1)
	v_add3_u32 v0, v0, v2, v1
	v_ashrrev_i32_e32 v1, 31, v0
	v_add_co_u32 v0, vcc_lo, v6, v0
	s_wait_alu 0xfffd
	s_delay_alu instid0(VALU_DEP_2) | instskip(SKIP_2) | instid1(VALU_DEP_1)
	v_add_co_ci_u32_e64 v1, null, v7, v1, vcc_lo
	flat_load_b128 v[116:119], v[0:1]
	v_add_nc_u32_e32 v0, 0x50, v3
	v_ashrrev_i32_e32 v1, 31, v0
	s_delay_alu instid0(VALU_DEP_1) | instskip(NEXT) | instid1(VALU_DEP_1)
	v_lshrrev_b32_e32 v1, 28, v1
	v_add_nc_u32_e32 v1, v0, v1
	s_delay_alu instid0(VALU_DEP_1) | instskip(SKIP_1) | instid1(VALU_DEP_1)
	v_lshrrev_b32_e32 v3, 4, v1
	v_and_b32_e32 v1, -16, v1
	v_sub_nc_u32_e32 v0, v0, v1
	s_delay_alu instid0(VALU_DEP_3) | instskip(SKIP_1) | instid1(VALU_DEP_2)
	v_add_nc_u32_e32 v1, v3, v8
	v_mov_b32_e32 v3, s13
	v_xor_b32_e32 v1, v1, v12
	s_delay_alu instid0(VALU_DEP_1) | instskip(NEXT) | instid1(VALU_DEP_1)
	v_sub_nc_u32_e32 v1, v1, v5
	v_lshlrev_b32_e32 v1, 4, v1
	s_delay_alu instid0(VALU_DEP_1) | instskip(SKIP_2) | instid1(VALU_DEP_2)
	v_add3_u32 v0, v0, v2, v1
	s_wait_alu 0xfffe
	v_mov_b32_e32 v2, s3
	v_ashrrev_i32_e32 v1, 31, v0
	v_add_co_u32 v0, vcc_lo, v6, v0
	s_wait_alu 0xfffd
	s_delay_alu instid0(VALU_DEP_2)
	v_add_co_ci_u32_e64 v1, null, v7, v1, vcc_lo
	flat_load_b128 v[128:131], v[0:1]
	v_dual_mov_b32 v0, s33 :: v_dual_mov_b32 v1, s13
	s_swappc_b64 s[30:31], s[0:1]
	; sched_group_barrier mask(0x00000008) size(8) SyncID(0)
	; sched_group_barrier mask(0x00000100) size(1) SyncID(0)
	;; [unrolled: 1-line block ×8, first 2 shown]
	; sched_barrier mask(0x00000000)
	scratch_load_b128 v[6:9], off, s33 offset:512
	flat_load_b128 v[0:3], v[52:53] offset:768
	s_clause 0x6
	scratch_load_b128 v[10:13], off, s33 offset:528
	scratch_load_b128 v[16:19], off, s33 offset:576
	;; [unrolled: 1-line block ×7, first 2 shown]
	s_add_co_i32 s3, s33, 0x200
	s_wait_loadcnt 0x8
	v_perm_b32 v15, v7, v7, 0x3020104
	v_perm_b32 v14, v6, v6, 0x3020504
	flat_load_b128 v[4:7], v[52:53] offset:784
	s_wait_loadcnt_dscnt 0x0
	v_wmma_f32_16x16x16_fp8_fp8 v[0:7], v[98:99], v[14:15], v[0:7]
	s_delay_alu instid0(VALU_DEP_1) | instskip(NEXT) | instid1(VALU_DEP_1)
	v_wmma_f32_16x16x16_fp8_fp8 v[0:7], v[100:101], v[8:9], v[0:7]
	v_wmma_f32_16x16x16_fp8_fp8 v[0:7], v[112:113], v[10:11], v[0:7]
	flat_load_b128 v[8:11], v[52:53] offset:800
	v_wmma_f32_16x16x16_fp8_fp8 v[0:7], v[114:115], v[12:13], v[0:7]
	flat_load_b128 v[12:15], v[52:53] offset:816
	s_wait_loadcnt_dscnt 0x0
	v_wmma_f32_16x16x16_fp8_fp8 v[8:15], v[98:99], v[16:17], v[8:15]
	s_delay_alu instid0(VALU_DEP_1) | instskip(SKIP_2) | instid1(VALU_DEP_1)
	v_wmma_f32_16x16x16_fp8_fp8 v[8:15], v[100:101], v[18:19], v[8:15]
	flat_load_b128 v[16:19], v[52:53] offset:832
	v_wmma_f32_16x16x16_fp8_fp8 v[8:15], v[112:113], v[20:21], v[8:15]
	v_wmma_f32_16x16x16_fp8_fp8 v[8:15], v[114:115], v[22:23], v[8:15]
	flat_load_b128 v[20:23], v[52:53] offset:848
	s_wait_loadcnt_dscnt 0x0
	v_wmma_f32_16x16x16_fp8_fp8 v[16:23], v[98:99], v[24:25], v[16:23]
	s_delay_alu instid0(VALU_DEP_1) | instskip(SKIP_2) | instid1(VALU_DEP_1)
	v_wmma_f32_16x16x16_fp8_fp8 v[16:23], v[100:101], v[26:27], v[16:23]
	flat_load_b128 v[24:27], v[52:53] offset:864
	v_wmma_f32_16x16x16_fp8_fp8 v[16:23], v[112:113], v[28:29], v[16:23]
	v_wmma_f32_16x16x16_fp8_fp8 v[16:23], v[114:115], v[30:31], v[16:23]
	flat_load_b128 v[28:31], v[52:53] offset:880
	s_wait_loadcnt_dscnt 0x0
	v_wmma_f32_16x16x16_fp8_fp8 v[24:31], v[98:99], v[32:33], v[24:31]
	s_delay_alu instid0(VALU_DEP_1) | instskip(SKIP_2) | instid1(VALU_DEP_1)
	v_wmma_f32_16x16x16_fp8_fp8 v[24:31], v[100:101], v[34:35], v[24:31]
	scratch_load_b128 v[32:35], off, s33 offset:544
	v_wmma_f32_16x16x16_fp8_fp8 v[24:31], v[112:113], v[36:37], v[24:31]
	v_wmma_f32_16x16x16_fp8_fp8 v[24:31], v[114:115], v[38:39], v[24:31]
	scratch_load_b128 v[36:39], off, s33 offset:560
	s_wait_loadcnt 0x1
	v_wmma_f32_16x16x16_fp8_fp8 v[0:7], v[116:117], v[32:33], v[0:7]
	s_delay_alu instid0(VALU_DEP_1) | instskip(SKIP_1) | instid1(VALU_DEP_1)
	v_wmma_f32_16x16x16_fp8_fp8 v[0:7], v[118:119], v[34:35], v[0:7]
	s_wait_loadcnt 0x0
	v_wmma_f32_16x16x16_fp8_fp8 v[0:7], v[128:129], v[36:37], v[0:7]
	s_delay_alu instid0(VALU_DEP_1)
	v_wmma_f32_16x16x16_fp8_fp8 v[0:7], v[130:131], v[38:39], v[0:7]
	flat_store_b128 v[52:53], v[0:3] offset:768
	scratch_load_b128 v[0:3], off, s33 offset:608
	flat_store_b128 v[52:53], v[4:7] offset:784
	scratch_load_b128 v[4:7], off, s33 offset:624
	s_wait_loadcnt 0x1
	v_nop
	v_wmma_f32_16x16x16_fp8_fp8 v[8:15], v[116:117], v[0:1], v[8:15]
	s_delay_alu instid0(VALU_DEP_1) | instskip(SKIP_3) | instid1(VALU_DEP_1)
	v_wmma_f32_16x16x16_fp8_fp8 v[8:15], v[118:119], v[2:3], v[8:15]
	scratch_load_b128 v[0:3], off, s33 offset:672
	s_wait_loadcnt 0x1
	v_wmma_f32_16x16x16_fp8_fp8 v[8:15], v[128:129], v[4:5], v[8:15]
	v_wmma_f32_16x16x16_fp8_fp8 v[8:15], v[130:131], v[6:7], v[8:15]
	scratch_load_b128 v[4:7], off, s33 offset:688
	s_clause 0x1
	flat_store_b128 v[52:53], v[8:11] offset:800
	flat_store_b128 v[52:53], v[12:15] offset:816
	s_wait_loadcnt 0x1
	v_wmma_f32_16x16x16_fp8_fp8 v[16:23], v[116:117], v[0:1], v[16:23]
	s_delay_alu instid0(VALU_DEP_1) | instskip(SKIP_3) | instid1(VALU_DEP_1)
	v_wmma_f32_16x16x16_fp8_fp8 v[16:23], v[118:119], v[2:3], v[16:23]
	scratch_load_b128 v[0:3], off, s33 offset:736
	s_wait_loadcnt 0x1
	v_wmma_f32_16x16x16_fp8_fp8 v[16:23], v[128:129], v[4:5], v[16:23]
	v_wmma_f32_16x16x16_fp8_fp8 v[16:23], v[130:131], v[6:7], v[16:23]
	scratch_load_b128 v[4:7], off, s33 offset:752
	s_clause 0x1
	flat_store_b128 v[52:53], v[20:23] offset:848
	flat_store_b128 v[52:53], v[16:19] offset:832
	s_wait_loadcnt 0x1
	v_wmma_f32_16x16x16_fp8_fp8 v[24:31], v[116:117], v[0:1], v[24:31]
	s_delay_alu instid0(VALU_DEP_1) | instskip(SKIP_1) | instid1(VALU_DEP_1)
	v_wmma_f32_16x16x16_fp8_fp8 v[24:31], v[118:119], v[2:3], v[24:31]
	s_wait_loadcnt 0x0
	v_wmma_f32_16x16x16_fp8_fp8 v[24:31], v[128:129], v[4:5], v[24:31]
	s_delay_alu instid0(VALU_DEP_1)
	v_wmma_f32_16x16x16_fp8_fp8 v[24:31], v[130:131], v[6:7], v[24:31]
	s_clause 0x1
	flat_store_b128 v[52:53], v[28:31] offset:880
	flat_store_b128 v[52:53], v[24:27] offset:864
	s_clause 0x3
	flat_load_b64 v[7:8], v[64:65] offset:1148
	flat_load_b64 v[9:10], v[64:65] offset:1164
	flat_load_b128 v[0:3], v[64:65] offset:1176
	flat_load_b96 v[4:6], v[64:65] offset:1132
	s_wait_loadcnt_dscnt 0x202
	v_sub_nc_u32_e32 v7, v7, v10
	s_wait_loadcnt_dscnt 0x101
	v_add_nc_u32_e32 v0, v9, v0
	s_wait_loadcnt_dscnt 0x0
	v_sub_nc_u32_e32 v2, v4, v2
	v_add3_u32 v1, v7, v1, 0xe0
	v_sub_nc_u32_e32 v7, v8, v9
	v_sub_nc_u32_e32 v8, v8, v0
	s_delay_alu instid0(VALU_DEP_3) | instskip(NEXT) | instid1(VALU_DEP_1)
	v_ashrrev_i32_e32 v10, 31, v1
	v_lshrrev_b32_e32 v10, 29, v10
	s_delay_alu instid0(VALU_DEP_1) | instskip(NEXT) | instid1(VALU_DEP_1)
	v_add_nc_u32_e32 v10, v1, v10
	v_and_b32_e32 v10, -8, v10
	s_delay_alu instid0(VALU_DEP_1) | instskip(SKIP_1) | instid1(VALU_DEP_2)
	v_sub_nc_u32_e32 v12, v1, v10
	v_sub_nc_u32_e32 v1, v1, v6
	v_xor_b32_e32 v7, v12, v7
	s_delay_alu instid0(VALU_DEP_2) | instskip(NEXT) | instid1(VALU_DEP_2)
	v_lshlrev_b32_e32 v1, 7, v1
	v_sub_nc_u32_e32 v6, v7, v5
	s_delay_alu instid0(VALU_DEP_2) | instskip(NEXT) | instid1(VALU_DEP_2)
	v_add_nc_u32_e32 v2, v2, v1
	v_lshlrev_b32_e32 v6, 4, v6
	s_delay_alu instid0(VALU_DEP_1)
	v_add3_u32 v10, v1, v4, v6
	flat_load_b64 v[6:7], v[54:55]
	v_ashrrev_i32_e32 v11, 31, v10
	s_wait_loadcnt_dscnt 0x0
	v_add_co_u32 v10, vcc_lo, v6, v10
	s_wait_alu 0xfffd
	s_delay_alu instid0(VALU_DEP_2) | instskip(SKIP_2) | instid1(VALU_DEP_1)
	v_add_co_ci_u32_e64 v11, null, v7, v11, vcc_lo
	flat_load_b128 v[98:101], v[10:11]
	v_add_nc_u32_e32 v10, 16, v3
	v_ashrrev_i32_e32 v11, 31, v10
	s_delay_alu instid0(VALU_DEP_1) | instskip(NEXT) | instid1(VALU_DEP_1)
	v_lshrrev_b32_e32 v11, 28, v11
	v_add_nc_u32_e32 v11, v10, v11
	s_delay_alu instid0(VALU_DEP_1) | instskip(SKIP_1) | instid1(VALU_DEP_2)
	v_lshrrev_b32_e32 v13, 4, v11
	v_and_b32_e32 v11, -16, v11
	v_add_nc_u32_e32 v0, v13, v8
	s_delay_alu instid0(VALU_DEP_2) | instskip(NEXT) | instid1(VALU_DEP_2)
	v_sub_nc_u32_e32 v10, v10, v11
	v_xor_b32_e32 v0, v0, v12
	s_delay_alu instid0(VALU_DEP_1) | instskip(NEXT) | instid1(VALU_DEP_1)
	v_sub_nc_u32_e32 v0, v0, v5
	v_lshlrev_b32_e32 v0, 4, v0
	s_delay_alu instid0(VALU_DEP_1) | instskip(NEXT) | instid1(VALU_DEP_1)
	v_add3_u32 v0, v10, v2, v0
	v_ashrrev_i32_e32 v1, 31, v0
	v_add_co_u32 v0, vcc_lo, v6, v0
	s_wait_alu 0xfffd
	s_delay_alu instid0(VALU_DEP_2) | instskip(SKIP_2) | instid1(VALU_DEP_1)
	v_add_co_ci_u32_e64 v1, null, v7, v1, vcc_lo
	flat_load_b128 v[112:115], v[0:1]
	v_add_nc_u32_e32 v0, 64, v3
	v_ashrrev_i32_e32 v1, 31, v0
	s_delay_alu instid0(VALU_DEP_1) | instskip(NEXT) | instid1(VALU_DEP_1)
	v_lshrrev_b32_e32 v1, 28, v1
	v_add_nc_u32_e32 v1, v0, v1
	s_delay_alu instid0(VALU_DEP_1) | instskip(SKIP_1) | instid1(VALU_DEP_1)
	v_lshrrev_b32_e32 v4, 4, v1
	v_and_b32_e32 v1, -16, v1
	v_sub_nc_u32_e32 v0, v0, v1
	s_delay_alu instid0(VALU_DEP_3) | instskip(NEXT) | instid1(VALU_DEP_1)
	v_add_nc_u32_e32 v1, v4, v8
	v_xor_b32_e32 v1, v1, v12
	s_delay_alu instid0(VALU_DEP_1) | instskip(NEXT) | instid1(VALU_DEP_1)
	v_sub_nc_u32_e32 v1, v1, v5
	v_lshlrev_b32_e32 v1, 4, v1
	s_delay_alu instid0(VALU_DEP_1) | instskip(NEXT) | instid1(VALU_DEP_1)
	v_add3_u32 v0, v0, v2, v1
	v_ashrrev_i32_e32 v1, 31, v0
	v_add_co_u32 v0, vcc_lo, v6, v0
	s_wait_alu 0xfffd
	s_delay_alu instid0(VALU_DEP_2) | instskip(SKIP_2) | instid1(VALU_DEP_1)
	v_add_co_ci_u32_e64 v1, null, v7, v1, vcc_lo
	flat_load_b128 v[116:119], v[0:1]
	v_add_nc_u32_e32 v0, 0x50, v3
	v_ashrrev_i32_e32 v1, 31, v0
	s_delay_alu instid0(VALU_DEP_1) | instskip(NEXT) | instid1(VALU_DEP_1)
	v_lshrrev_b32_e32 v1, 28, v1
	v_add_nc_u32_e32 v1, v0, v1
	s_delay_alu instid0(VALU_DEP_1) | instskip(SKIP_1) | instid1(VALU_DEP_1)
	v_lshrrev_b32_e32 v3, 4, v1
	v_and_b32_e32 v1, -16, v1
	v_sub_nc_u32_e32 v0, v0, v1
	s_delay_alu instid0(VALU_DEP_3) | instskip(SKIP_1) | instid1(VALU_DEP_2)
	v_add_nc_u32_e32 v1, v3, v8
	v_mov_b32_e32 v3, s13
	v_xor_b32_e32 v1, v1, v12
	s_delay_alu instid0(VALU_DEP_1) | instskip(NEXT) | instid1(VALU_DEP_1)
	v_sub_nc_u32_e32 v1, v1, v5
	v_lshlrev_b32_e32 v1, 4, v1
	s_delay_alu instid0(VALU_DEP_1) | instskip(SKIP_2) | instid1(VALU_DEP_2)
	v_add3_u32 v0, v0, v2, v1
	s_wait_alu 0xfffe
	v_mov_b32_e32 v2, s3
	v_ashrrev_i32_e32 v1, 31, v0
	v_add_co_u32 v0, vcc_lo, v6, v0
	s_wait_alu 0xfffd
	s_delay_alu instid0(VALU_DEP_2)
	v_add_co_ci_u32_e64 v1, null, v7, v1, vcc_lo
	flat_load_b128 v[128:131], v[0:1]
	v_dual_mov_b32 v0, s33 :: v_dual_mov_b32 v1, s13
	s_swappc_b64 s[30:31], s[0:1]
	; sched_group_barrier mask(0x00000008) size(8) SyncID(0)
	; sched_group_barrier mask(0x00000100) size(1) SyncID(0)
	;; [unrolled: 1-line block ×8, first 2 shown]
	; sched_barrier mask(0x00000000)
	scratch_load_b128 v[6:9], off, s33 offset:512
	flat_load_b128 v[0:3], v[52:53] offset:896
	s_clause 0x6
	scratch_load_b128 v[10:13], off, s33 offset:528
	scratch_load_b128 v[16:19], off, s33 offset:576
	scratch_load_b128 v[20:23], off, s33 offset:592
	scratch_load_b128 v[24:27], off, s33 offset:640
	scratch_load_b128 v[28:31], off, s33 offset:656
	scratch_load_b128 v[32:35], off, s33 offset:704
	scratch_load_b128 v[36:39], off, s33 offset:720
	s_wait_loadcnt 0x8
	v_perm_b32 v15, v7, v7, 0x3020104
	v_perm_b32 v14, v6, v6, 0x3020504
	flat_load_b128 v[4:7], v[52:53] offset:912
	s_wait_loadcnt_dscnt 0x0
	v_wmma_f32_16x16x16_fp8_fp8 v[0:7], v[98:99], v[14:15], v[0:7]
	s_delay_alu instid0(VALU_DEP_1) | instskip(NEXT) | instid1(VALU_DEP_1)
	v_wmma_f32_16x16x16_fp8_fp8 v[0:7], v[100:101], v[8:9], v[0:7]
	v_wmma_f32_16x16x16_fp8_fp8 v[0:7], v[112:113], v[10:11], v[0:7]
	flat_load_b128 v[8:11], v[52:53] offset:928
	v_wmma_f32_16x16x16_fp8_fp8 v[0:7], v[114:115], v[12:13], v[0:7]
	flat_load_b128 v[12:15], v[52:53] offset:944
	s_wait_loadcnt_dscnt 0x0
	v_wmma_f32_16x16x16_fp8_fp8 v[8:15], v[98:99], v[16:17], v[8:15]
	s_delay_alu instid0(VALU_DEP_1) | instskip(SKIP_2) | instid1(VALU_DEP_1)
	v_wmma_f32_16x16x16_fp8_fp8 v[8:15], v[100:101], v[18:19], v[8:15]
	flat_load_b128 v[16:19], v[52:53] offset:960
	v_wmma_f32_16x16x16_fp8_fp8 v[8:15], v[112:113], v[20:21], v[8:15]
	v_wmma_f32_16x16x16_fp8_fp8 v[8:15], v[114:115], v[22:23], v[8:15]
	flat_load_b128 v[20:23], v[52:53] offset:976
	s_wait_loadcnt_dscnt 0x0
	v_wmma_f32_16x16x16_fp8_fp8 v[16:23], v[98:99], v[24:25], v[16:23]
	s_delay_alu instid0(VALU_DEP_1) | instskip(SKIP_2) | instid1(VALU_DEP_1)
	v_wmma_f32_16x16x16_fp8_fp8 v[16:23], v[100:101], v[26:27], v[16:23]
	flat_load_b128 v[24:27], v[52:53] offset:992
	v_wmma_f32_16x16x16_fp8_fp8 v[16:23], v[112:113], v[28:29], v[16:23]
	v_wmma_f32_16x16x16_fp8_fp8 v[16:23], v[114:115], v[30:31], v[16:23]
	flat_load_b128 v[28:31], v[52:53] offset:1008
	s_wait_loadcnt_dscnt 0x0
	v_wmma_f32_16x16x16_fp8_fp8 v[24:31], v[98:99], v[32:33], v[24:31]
	s_delay_alu instid0(VALU_DEP_1) | instskip(SKIP_2) | instid1(VALU_DEP_1)
	v_wmma_f32_16x16x16_fp8_fp8 v[24:31], v[100:101], v[34:35], v[24:31]
	scratch_load_b128 v[32:35], off, s33 offset:544
	v_wmma_f32_16x16x16_fp8_fp8 v[24:31], v[112:113], v[36:37], v[24:31]
	v_wmma_f32_16x16x16_fp8_fp8 v[24:31], v[114:115], v[38:39], v[24:31]
	scratch_load_b128 v[36:39], off, s33 offset:560
	s_wait_loadcnt 0x1
	v_wmma_f32_16x16x16_fp8_fp8 v[0:7], v[116:117], v[32:33], v[0:7]
	s_delay_alu instid0(VALU_DEP_1) | instskip(SKIP_1) | instid1(VALU_DEP_1)
	v_wmma_f32_16x16x16_fp8_fp8 v[0:7], v[118:119], v[34:35], v[0:7]
	s_wait_loadcnt 0x0
	v_wmma_f32_16x16x16_fp8_fp8 v[0:7], v[128:129], v[36:37], v[0:7]
	s_delay_alu instid0(VALU_DEP_1)
	v_wmma_f32_16x16x16_fp8_fp8 v[0:7], v[130:131], v[38:39], v[0:7]
	flat_store_b128 v[52:53], v[0:3] offset:896
	scratch_load_b128 v[0:3], off, s33 offset:608
	flat_store_b128 v[52:53], v[4:7] offset:912
	scratch_load_b128 v[4:7], off, s33 offset:624
	s_wait_loadcnt 0x1
	v_nop
	v_wmma_f32_16x16x16_fp8_fp8 v[8:15], v[116:117], v[0:1], v[8:15]
	s_delay_alu instid0(VALU_DEP_1) | instskip(SKIP_3) | instid1(VALU_DEP_1)
	v_wmma_f32_16x16x16_fp8_fp8 v[8:15], v[118:119], v[2:3], v[8:15]
	scratch_load_b128 v[0:3], off, s33 offset:672
	s_wait_loadcnt 0x1
	v_wmma_f32_16x16x16_fp8_fp8 v[8:15], v[128:129], v[4:5], v[8:15]
	v_wmma_f32_16x16x16_fp8_fp8 v[8:15], v[130:131], v[6:7], v[8:15]
	scratch_load_b128 v[4:7], off, s33 offset:688
	s_clause 0x1
	flat_store_b128 v[52:53], v[8:11] offset:928
	flat_store_b128 v[52:53], v[12:15] offset:944
	s_wait_loadcnt 0x1
	v_wmma_f32_16x16x16_fp8_fp8 v[16:23], v[116:117], v[0:1], v[16:23]
	s_delay_alu instid0(VALU_DEP_1) | instskip(SKIP_3) | instid1(VALU_DEP_1)
	v_wmma_f32_16x16x16_fp8_fp8 v[16:23], v[118:119], v[2:3], v[16:23]
	scratch_load_b128 v[0:3], off, s33 offset:736
	s_wait_loadcnt 0x1
	v_wmma_f32_16x16x16_fp8_fp8 v[16:23], v[128:129], v[4:5], v[16:23]
	v_wmma_f32_16x16x16_fp8_fp8 v[16:23], v[130:131], v[6:7], v[16:23]
	scratch_load_b128 v[4:7], off, s33 offset:752
	s_clause 0x1
	flat_store_b128 v[52:53], v[20:23] offset:976
	flat_store_b128 v[52:53], v[16:19] offset:960
	s_wait_loadcnt 0x1
	v_wmma_f32_16x16x16_fp8_fp8 v[24:31], v[116:117], v[0:1], v[24:31]
	s_delay_alu instid0(VALU_DEP_1) | instskip(SKIP_1) | instid1(VALU_DEP_1)
	v_wmma_f32_16x16x16_fp8_fp8 v[24:31], v[118:119], v[2:3], v[24:31]
	s_wait_loadcnt 0x0
	v_wmma_f32_16x16x16_fp8_fp8 v[24:31], v[128:129], v[4:5], v[24:31]
	s_delay_alu instid0(VALU_DEP_1)
	v_wmma_f32_16x16x16_fp8_fp8 v[24:31], v[130:131], v[6:7], v[24:31]
	s_clause 0x1
	flat_store_b128 v[52:53], v[28:31] offset:1008
	flat_store_b128 v[52:53], v[24:27] offset:992
	s_wait_dscnt 0x0
	s_barrier_signal -1
	s_barrier_wait -1
	flat_load_b96 v[0:2], v[64:65] offset:1132
	flat_load_b64 v[3:4], v[54:55] offset:16
	s_clause 0x1
	flat_load_b64 v[7:8], v[64:65] offset:1184
	flat_load_b32 v9, v[64:65] offset:1176
	s_wait_loadcnt_dscnt 0x303
	v_ashrrev_i32_e32 v6, 31, v0
	s_wait_loadcnt_dscnt 0x202
	v_add_co_u32 v5, vcc_lo, v3, v0
	s_wait_loadcnt_dscnt 0x101
	v_add_nc_u32_e32 v10, 16, v8
	s_wait_alu 0xfffd
	v_add_co_ci_u32_e64 v6, null, v4, v6, vcc_lo
	s_delay_alu instid0(VALU_DEP_2) | instskip(SKIP_3) | instid1(VALU_DEP_1)
	v_ashrrev_i32_e32 v11, 31, v10
	flat_load_b128 v[116:119], v[5:6]
	flat_load_b64 v[5:6], v[64:65] offset:1148
	v_lshrrev_b32_e32 v11, 28, v11
	v_add_nc_u32_e32 v11, v10, v11
	s_delay_alu instid0(VALU_DEP_1) | instskip(SKIP_1) | instid1(VALU_DEP_1)
	v_lshrrev_b32_e32 v12, 4, v11
	v_and_b32_e32 v11, -16, v11
	v_sub_nc_u32_e32 v10, v10, v11
	s_wait_loadcnt_dscnt 0x0
	v_ashrrev_i32_e32 v11, 31, v5
	v_sub_nc_u32_e32 v9, v6, v9
	v_sub_nc_u32_e32 v2, v5, v2
	s_delay_alu instid0(VALU_DEP_3) | instskip(NEXT) | instid1(VALU_DEP_3)
	v_lshrrev_b32_e32 v11, 29, v11
	v_add_nc_u32_e32 v6, v12, v9
	s_delay_alu instid0(VALU_DEP_3) | instskip(NEXT) | instid1(VALU_DEP_3)
	v_lshl_add_u32 v0, v2, 7, v0
	v_add_nc_u32_e32 v11, v5, v11
	s_delay_alu instid0(VALU_DEP_2) | instskip(NEXT) | instid1(VALU_DEP_2)
	v_sub_nc_u32_e32 v0, v0, v7
	v_and_b32_e32 v11, -8, v11
	s_delay_alu instid0(VALU_DEP_1) | instskip(NEXT) | instid1(VALU_DEP_1)
	v_sub_nc_u32_e32 v11, v5, v11
	v_xor_b32_e32 v6, v6, v11
	s_delay_alu instid0(VALU_DEP_1) | instskip(NEXT) | instid1(VALU_DEP_1)
	v_sub_nc_u32_e32 v5, v6, v1
	v_lshlrev_b32_e32 v5, 4, v5
	s_delay_alu instid0(VALU_DEP_1) | instskip(NEXT) | instid1(VALU_DEP_1)
	v_add3_u32 v2, v10, v0, v5
	v_ashrrev_i32_e32 v6, 31, v2
	v_add_co_u32 v5, vcc_lo, v3, v2
	v_add_nc_u32_e32 v2, 64, v8
	s_wait_alu 0xfffd
	s_delay_alu instid0(VALU_DEP_3) | instskip(SKIP_2) | instid1(VALU_DEP_1)
	v_add_co_ci_u32_e64 v6, null, v4, v6, vcc_lo
	flat_load_b128 v[128:131], v[5:6]
	v_ashrrev_i32_e32 v5, 31, v2
	v_lshrrev_b32_e32 v5, 28, v5
	s_delay_alu instid0(VALU_DEP_1) | instskip(NEXT) | instid1(VALU_DEP_1)
	v_add_nc_u32_e32 v5, v2, v5
	v_lshrrev_b32_e32 v6, 4, v5
	v_and_b32_e32 v5, -16, v5
	s_delay_alu instid0(VALU_DEP_1) | instskip(NEXT) | instid1(VALU_DEP_3)
	v_sub_nc_u32_e32 v2, v2, v5
	v_add_nc_u32_e32 v5, v6, v9
	s_delay_alu instid0(VALU_DEP_1) | instskip(NEXT) | instid1(VALU_DEP_1)
	v_xor_b32_e32 v5, v5, v11
	v_sub_nc_u32_e32 v5, v5, v1
	s_delay_alu instid0(VALU_DEP_1) | instskip(NEXT) | instid1(VALU_DEP_1)
	v_lshlrev_b32_e32 v5, 4, v5
	v_add3_u32 v2, v2, v0, v5
	s_delay_alu instid0(VALU_DEP_1) | instskip(SKIP_3) | instid1(VALU_DEP_3)
	v_ashrrev_i32_e32 v6, 31, v2
	v_add_co_u32 v5, vcc_lo, v3, v2
	v_add_nc_u32_e32 v2, 0x50, v8
	s_wait_alu 0xfffd
	v_add_co_ci_u32_e64 v6, null, v4, v6, vcc_lo
	flat_load_b128 v[98:101], v[5:6]
	v_ashrrev_i32_e32 v5, 31, v2
	s_delay_alu instid0(VALU_DEP_1) | instskip(NEXT) | instid1(VALU_DEP_1)
	v_lshrrev_b32_e32 v5, 28, v5
	v_add_nc_u32_e32 v5, v2, v5
	s_delay_alu instid0(VALU_DEP_1) | instskip(SKIP_1) | instid1(VALU_DEP_1)
	v_lshrrev_b32_e32 v6, 4, v5
	v_and_b32_e32 v5, -16, v5
	v_sub_nc_u32_e32 v2, v2, v5
	s_delay_alu instid0(VALU_DEP_3) | instskip(NEXT) | instid1(VALU_DEP_1)
	v_add_nc_u32_e32 v5, v6, v9
	v_xor_b32_e32 v5, v5, v11
	s_delay_alu instid0(VALU_DEP_1) | instskip(NEXT) | instid1(VALU_DEP_1)
	v_sub_nc_u32_e32 v1, v5, v1
	v_lshlrev_b32_e32 v1, 4, v1
	s_delay_alu instid0(VALU_DEP_1) | instskip(SKIP_1) | instid1(VALU_DEP_2)
	v_add3_u32 v0, v2, v0, v1
	v_mov_b32_e32 v2, s14
	v_ashrrev_i32_e32 v1, 31, v0
	v_add_co_u32 v0, vcc_lo, v3, v0
	v_mov_b32_e32 v3, s15
	s_wait_alu 0xfffd
	s_delay_alu instid0(VALU_DEP_3)
	v_add_co_ci_u32_e64 v1, null, v4, v1, vcc_lo
	flat_load_b128 v[112:115], v[0:1]
	v_dual_mov_b32 v0, s12 :: v_dual_mov_b32 v1, s13
	s_wait_alu 0xfffe
	s_swappc_b64 s[30:31], s[0:1]
	; sched_group_barrier mask(0x00000008) size(8) SyncID(0)
	; sched_group_barrier mask(0x00000100) size(1) SyncID(0)
	;; [unrolled: 1-line block ×8, first 2 shown]
	; sched_barrier mask(0x00000000)
	flat_load_b128 v[4:7], v[80:81]
	flat_load_b128 v[0:3], v[68:69]
	flat_load_b64 v[12:13], v[80:81]
	s_mov_b32 s1, exec_lo
	s_wait_loadcnt_dscnt 0x202
	v_lshrrev_b32_e32 v9, 31, v7
	s_wait_loadcnt_dscnt 0x101
	v_lshrrev_b32_e32 v8, 31, v0
	s_wait_loadcnt_dscnt 0x0
	v_and_b32_e32 v13, 0xffff, v13
	v_add_co_u32 v6, vcc_lo, v6, v9
	s_delay_alu instid0(VALU_DEP_3) | instskip(SKIP_2) | instid1(VALU_DEP_2)
	v_add_nc_u32_e32 v8, v0, v8
	s_wait_alu 0xfffd
	v_add_co_ci_u32_e64 v7, null, 0, v7, vcc_lo
	v_ashrrev_i32_e32 v10, 1, v8
	s_delay_alu instid0(VALU_DEP_2)
	v_alignbit_b32 v132, v7, v6, 1
.LBB8_105:                              ;   Parent Loop BB8_64 Depth=1
                                        ; =>  This Inner Loop Header: Depth=2
	v_readfirstlane_b32 s8, v12
	v_readfirstlane_b32 s9, v13
	s_delay_alu instid0(VALU_DEP_3) | instskip(SKIP_2) | instid1(VALU_DEP_3)
	v_readfirstlane_b32 s10, v132
	v_readfirstlane_b32 s11, v133
	s_wait_alu 0xf1ff
	v_cmp_eq_u64_e32 vcc_lo, s[8:9], v[12:13]
	s_delay_alu instid0(VALU_DEP_2)
	v_cmp_eq_u64_e64 s0, s[10:11], v[132:133]
	s_and_b32 s0, vcc_lo, s0
	s_wait_alu 0xfffe
	s_and_saveexec_b32 s0, s0
	s_wait_loadcnt 0x0
	buffer_load_b128 v[6:9], v10, s[8:11], null offen
                                        ; implicit-def: $vgpr10
	s_xor_b32 exec_lo, exec_lo, s0
	s_cbranch_execnz .LBB8_105
; %bb.106:                              ;   in Loop: Header=BB8_64 Depth=1
	s_mov_b32 exec_lo, s1
	v_add_nc_u32_e32 v14, 1, v1
	s_mov_b32 s1, exec_lo
	s_wait_loadcnt 0x0
	scratch_store_b128 off, v[6:9], s33
	flat_store_b32 v[68:69], v14 offset:4
	flat_load_b32 v10, v[70:71] offset:16
	s_wait_loadcnt_dscnt 0x0
	v_add_nc_u32_e32 v10, v10, v0
	s_delay_alu instid0(VALU_DEP_1) | instskip(SKIP_2) | instid1(VALU_DEP_1)
	v_lshrrev_b32_e32 v0, 31, v10
	flat_store_b32 v[68:69], v10
	v_add_nc_u32_e32 v0, v10, v0
	v_ashrrev_i32_e32 v0, 1, v0
.LBB8_107:                              ;   Parent Loop BB8_64 Depth=1
                                        ; =>  This Inner Loop Header: Depth=2
	v_readfirstlane_b32 s8, v12
	v_readfirstlane_b32 s9, v13
	;; [unrolled: 1-line block ×4, first 2 shown]
	s_wait_alu 0xf1ff
	s_delay_alu instid0(VALU_DEP_3) | instskip(NEXT) | instid1(VALU_DEP_2)
	v_cmp_eq_u64_e32 vcc_lo, s[8:9], v[12:13]
	v_cmp_eq_u64_e64 s0, s[10:11], v[132:133]
	s_and_b32 s0, vcc_lo, s0
	s_wait_alu 0xfffe
	s_and_saveexec_b32 s0, s0
	s_wait_loadcnt 0x0
	buffer_load_b128 v[6:9], v0, s[8:11], null offen
                                        ; implicit-def: $vgpr0
	s_xor_b32 exec_lo, exec_lo, s0
	s_cbranch_execnz .LBB8_107
; %bb.108:                              ;   in Loop: Header=BB8_64 Depth=1
	s_mov_b32 exec_lo, s1
	v_add_nc_u32_e32 v0, 2, v1
	s_mov_b32 s1, exec_lo
	s_wait_loadcnt 0x0
	scratch_store_b128 off, v[6:9], s33 offset:64
	flat_store_b32 v[68:69], v0 offset:4
	flat_load_b32 v11, v[70:71] offset:16
	s_wait_loadcnt_dscnt 0x0
	v_add_nc_u32_e32 v10, v11, v10
	s_delay_alu instid0(VALU_DEP_1) | instskip(SKIP_2) | instid1(VALU_DEP_1)
	v_lshrrev_b32_e32 v11, 31, v10
	flat_store_b32 v[68:69], v10
	v_add_nc_u32_e32 v11, v10, v11
	v_ashrrev_i32_e32 v11, 1, v11
.LBB8_109:                              ;   Parent Loop BB8_64 Depth=1
                                        ; =>  This Inner Loop Header: Depth=2
	v_readfirstlane_b32 s8, v12
	v_readfirstlane_b32 s9, v13
	v_readfirstlane_b32 s10, v132
	v_readfirstlane_b32 s11, v133
	s_wait_alu 0xf1ff
	s_delay_alu instid0(VALU_DEP_3) | instskip(NEXT) | instid1(VALU_DEP_2)
	v_cmp_eq_u64_e32 vcc_lo, s[8:9], v[12:13]
	v_cmp_eq_u64_e64 s0, s[10:11], v[132:133]
	s_and_b32 s0, vcc_lo, s0
	s_wait_alu 0xfffe
	s_and_saveexec_b32 s0, s0
	s_wait_loadcnt 0x0
	buffer_load_b128 v[6:9], v11, s[8:11], null offen
                                        ; implicit-def: $vgpr11
	s_xor_b32 exec_lo, exec_lo, s0
	s_cbranch_execnz .LBB8_109
; %bb.110:                              ;   in Loop: Header=BB8_64 Depth=1
	s_mov_b32 exec_lo, s1
	v_add_nc_u32_e32 v11, 3, v1
	s_mov_b32 s1, exec_lo
	s_wait_loadcnt 0x0
	scratch_store_b128 off, v[6:9], s33 offset:128
	flat_store_b32 v[68:69], v11 offset:4
	flat_load_b32 v11, v[70:71] offset:16
	s_wait_loadcnt_dscnt 0x0
	v_add_nc_u32_e32 v10, v11, v10
	s_delay_alu instid0(VALU_DEP_1) | instskip(SKIP_2) | instid1(VALU_DEP_1)
	v_lshrrev_b32_e32 v11, 31, v10
	flat_store_b32 v[68:69], v10
	v_add_nc_u32_e32 v11, v10, v11
	v_ashrrev_i32_e32 v11, 1, v11
.LBB8_111:                              ;   Parent Loop BB8_64 Depth=1
                                        ; =>  This Inner Loop Header: Depth=2
	v_readfirstlane_b32 s8, v12
	v_readfirstlane_b32 s9, v13
	v_readfirstlane_b32 s10, v132
	v_readfirstlane_b32 s11, v133
	s_wait_alu 0xf1ff
	s_delay_alu instid0(VALU_DEP_3) | instskip(NEXT) | instid1(VALU_DEP_2)
	v_cmp_eq_u64_e32 vcc_lo, s[8:9], v[12:13]
	v_cmp_eq_u64_e64 s0, s[10:11], v[132:133]
	s_and_b32 s0, vcc_lo, s0
	s_wait_alu 0xfffe
	s_and_saveexec_b32 s0, s0
	s_wait_loadcnt 0x0
	buffer_load_b128 v[6:9], v11, s[8:11], null offen
                                        ; implicit-def: $vgpr11
	s_xor_b32 exec_lo, exec_lo, s0
	s_cbranch_execnz .LBB8_111
	;; [unrolled: 33-line block ×3, first 2 shown]
; %bb.114:                              ;   in Loop: Header=BB8_64 Depth=1
	s_mov_b32 exec_lo, s1
	flat_store_b32 v[68:69], v0 offset:4
	flat_load_b32 v0, v[70:71] offset:16
	s_mov_b32 s1, exec_lo
	s_wait_loadcnt 0x1
	scratch_store_b128 off, v[6:9], s33 offset:224
	s_wait_loadcnt_dscnt 0x0
	v_sub_nc_u32_e32 v0, v10, v0
	s_delay_alu instid0(VALU_DEP_1) | instskip(SKIP_2) | instid1(VALU_DEP_1)
	v_lshrrev_b32_e32 v10, 31, v0
	flat_store_b32 v[68:69], v0
	v_add_nc_u32_e32 v10, v0, v10
	v_ashrrev_i32_e32 v15, 1, v10
.LBB8_115:                              ;   Parent Loop BB8_64 Depth=1
                                        ; =>  This Inner Loop Header: Depth=2
	v_readfirstlane_b32 s8, v12
	v_readfirstlane_b32 s9, v13
	;; [unrolled: 1-line block ×4, first 2 shown]
	s_wait_alu 0xf1ff
	s_delay_alu instid0(VALU_DEP_3) | instskip(NEXT) | instid1(VALU_DEP_2)
	v_cmp_eq_u64_e32 vcc_lo, s[8:9], v[12:13]
	v_cmp_eq_u64_e64 s0, s[10:11], v[132:133]
	s_and_b32 s0, vcc_lo, s0
	s_wait_alu 0xfffe
	s_and_saveexec_b32 s0, s0
	s_wait_loadcnt 0x0
	buffer_load_b128 v[8:11], v15, s[8:11], null offen
                                        ; implicit-def: $vgpr15
                                        ; implicit-def: $vgpr12_vgpr13
	s_xor_b32 exec_lo, exec_lo, s0
	s_cbranch_execnz .LBB8_115
; %bb.116:                              ;   in Loop: Header=BB8_64 Depth=1
	s_mov_b32 exec_lo, s1
	flat_store_b32 v[68:69], v14 offset:4
	flat_load_b32 v12, v[70:71] offset:16
	flat_load_b64 v[6:7], v[80:81] offset:8
	v_and_b32_e32 v5, 0xffff, v5
	s_mov_b32 s1, exec_lo
	s_wait_loadcnt 0x2
	scratch_store_b128 off, v[8:11], s33 offset:160
	s_wait_loadcnt_dscnt 0x101
	v_sub_nc_u32_e32 v0, v0, v12
	s_wait_loadcnt_dscnt 0x0
	v_lshrrev_b32_e32 v12, 31, v7
	s_delay_alu instid0(VALU_DEP_2) | instskip(NEXT) | instid1(VALU_DEP_2)
	v_lshrrev_b32_e32 v13, 31, v0
	v_add_co_u32 v6, vcc_lo, v6, v12
	s_wait_alu 0xfffd
	v_add_co_ci_u32_e64 v7, null, 0, v7, vcc_lo
	s_delay_alu instid0(VALU_DEP_3)
	v_add_nc_u32_e32 v12, v0, v13
	flat_store_b32 v[68:69], v0
	v_alignbit_b32 v6, v7, v6, 1
	v_mov_b32_e32 v7, v133
	v_ashrrev_i32_e32 v12, 1, v12
.LBB8_117:                              ;   Parent Loop BB8_64 Depth=1
                                        ; =>  This Inner Loop Header: Depth=2
	v_readfirstlane_b32 s8, v4
	v_readfirstlane_b32 s9, v5
	v_readfirstlane_b32 s10, v6
	v_readfirstlane_b32 s11, v7
	s_wait_alu 0xf1ff
	s_delay_alu instid0(VALU_DEP_3) | instskip(NEXT) | instid1(VALU_DEP_2)
	v_cmp_eq_u64_e32 vcc_lo, s[8:9], v[4:5]
	v_cmp_eq_u64_e64 s0, s[10:11], v[6:7]
	s_and_b32 s0, vcc_lo, s0
	s_wait_alu 0xfffe
	s_and_saveexec_b32 s0, s0
	s_wait_loadcnt 0x0
	buffer_load_b128 v[8:11], v12, s[8:11], null offen
                                        ; implicit-def: $vgpr12
	s_xor_b32 exec_lo, exec_lo, s0
	s_cbranch_execnz .LBB8_117
; %bb.118:                              ;   in Loop: Header=BB8_64 Depth=1
	s_mov_b32 exec_lo, s1
	flat_store_b32 v[68:69], v1 offset:4
	flat_load_b32 v12, v[70:71] offset:16
	s_mov_b32 s1, exec_lo
	s_wait_loadcnt 0x1
	scratch_store_b128 off, v[8:11], s33 offset:96
	s_wait_loadcnt_dscnt 0x0
	v_sub_nc_u32_e32 v0, v0, v12
	s_delay_alu instid0(VALU_DEP_1) | instskip(SKIP_2) | instid1(VALU_DEP_1)
	v_lshrrev_b32_e32 v12, 31, v0
	flat_store_b32 v[68:69], v0
	v_add_nc_u32_e32 v12, v0, v12
	v_ashrrev_i32_e32 v12, 1, v12
.LBB8_119:                              ;   Parent Loop BB8_64 Depth=1
                                        ; =>  This Inner Loop Header: Depth=2
	v_readfirstlane_b32 s8, v4
	v_readfirstlane_b32 s9, v5
	;; [unrolled: 1-line block ×4, first 2 shown]
	s_wait_alu 0xf1ff
	s_delay_alu instid0(VALU_DEP_3) | instskip(NEXT) | instid1(VALU_DEP_2)
	v_cmp_eq_u64_e32 vcc_lo, s[8:9], v[4:5]
	v_cmp_eq_u64_e64 s0, s[10:11], v[6:7]
	s_and_b32 s0, vcc_lo, s0
	s_wait_alu 0xfffe
	s_and_saveexec_b32 s0, s0
	s_wait_loadcnt 0x0
	buffer_load_b128 v[8:11], v12, s[8:11], null offen
                                        ; implicit-def: $vgpr4_vgpr5_vgpr6_vgpr7
                                        ; implicit-def: $vgpr12
	s_xor_b32 exec_lo, exec_lo, s0
	s_cbranch_execnz .LBB8_119
; %bb.120:                              ;   in Loop: Header=BB8_64 Depth=1
	s_mov_b32 exec_lo, s1
	flat_store_b32 v[68:69], v3 offset:12
	flat_load_b32 v4, v[70:71] offset:24
	s_mov_b32 s0, exec_lo
	s_wait_loadcnt_dscnt 0x0
	v_sub_nc_u32_e32 v0, v0, v4
	flat_store_b32 v[68:69], v0
	flat_load_b128 v[4:7], v[82:83]
	flat_load_b32 v15, v[68:69] offset:16
	s_wait_loadcnt_dscnt 0x101
	v_or_b32_e32 v12, v5, v4
	v_add_nc_u32_e32 v13, v2, v5
	v_add_nc_u32_e32 v14, v6, v3
	s_wait_loadcnt_dscnt 0x0
	v_add_nc_u32_e32 v15, v15, v7
	v_or3_b32 v16, v12, v6, v7
	v_add_nc_u32_e32 v12, v1, v4
	scratch_store_b128 off, v[8:11], s33 offset:32
	flat_store_b128 v[68:69], v[12:15] offset:4
	v_cmpx_ne_u32_e32 0, v16
	s_cbranch_execz .LBB8_122
; %bb.121:                              ;   in Loop: Header=BB8_64 Depth=1
	flat_load_b96 v[1:3], v[70:71] offset:16
	s_wait_loadcnt_dscnt 0x0
	v_mul_lo_u32 v1, v1, v4
	v_mul_lo_u32 v2, v2, v5
	;; [unrolled: 1-line block ×3, first 2 shown]
	s_delay_alu instid0(VALU_DEP_3) | instskip(NEXT) | instid1(VALU_DEP_1)
	v_add3_u32 v0, v7, v0, v1
	v_add3_u32 v0, v0, v2, v3
	flat_store_b32 v[68:69], v0
.LBB8_122:                              ;   in Loop: Header=BB8_64 Depth=1
	s_wait_alu 0xfffe
	s_or_b32 exec_lo, exec_lo, s0
	scratch_load_b128 v[8:11], off, s33 offset:768
	s_clause 0x1
	flat_load_b128 v[4:7], v[52:53] offset:16
	flat_load_b128 v[0:3], v[52:53]
	s_clause 0x6
	scratch_load_b128 v[12:15], off, s33 offset:784
	scratch_load_b128 v[16:19], off, s33 offset:832
	;; [unrolled: 1-line block ×7, first 2 shown]
	s_getpc_b64 s[0:1]
	s_wait_alu 0xfffe
	s_sext_i32_i16 s1, s1
	s_add_co_u32 s0, s0, _ZNK2ck44ThreadwiseTensorSliceTransfer_StaticToStaticINS_7pk_i4_tENS_9f8_fnuz_tEKNS_16TensorDescriptorINS_5TupleIJNS_7UnMergeINS4_IJNS_17integral_constantIiLi4EEENS6_IiLi1EEENS6_IiLi2EEENS6_IiLi32EEEEEELb0EEEEEENS4_IJNS_8SequenceIJLi0EEEEEEENS4_IJNSE_IJLi1ELi2ELi3ELi4EEEEEEESH_NS6_IlLl256EEEEESL_NS_16tensor_operation12element_wise11PassThroughENSE_IJLi4ELi1ELi2ELi32EEEENSE_IJLi1ELi2ELi0ELi3EEEELi3ELi32ELb0EE3RunINS4_IJNS6_IiLi0EEEST_ST_ST_EEESU_NS_12StaticBufferILNS_16AddressSpaceEnumE4ES1_Li256ELb1EEENSV_ILSW_4ES2_Li256ELb1EEEEEvRSL_RKT_RKT1_SZ_RKT0_RT2_@rel32@lo+12
	s_wait_alu 0xfffe
	s_add_co_ci_u32 s1, s1, _ZNK2ck44ThreadwiseTensorSliceTransfer_StaticToStaticINS_7pk_i4_tENS_9f8_fnuz_tEKNS_16TensorDescriptorINS_5TupleIJNS_7UnMergeINS4_IJNS_17integral_constantIiLi4EEENS6_IiLi1EEENS6_IiLi2EEENS6_IiLi32EEEEEELb0EEEEEENS4_IJNS_8SequenceIJLi0EEEEEEENS4_IJNSE_IJLi1ELi2ELi3ELi4EEEEEEESH_NS6_IlLl256EEEEESL_NS_16tensor_operation12element_wise11PassThroughENSE_IJLi4ELi1ELi2ELi32EEEENSE_IJLi1ELi2ELi0ELi3EEEELi3ELi32ELb0EE3RunINS4_IJNS6_IiLi0EEEST_ST_ST_EEESU_NS_12StaticBufferILNS_16AddressSpaceEnumE4ES1_Li256ELb1EEENSV_ILSW_4ES2_Li256ELb1EEEEEvRSL_RKT_RKT1_SZ_RKT0_RT2_@rel32@hi+24
	s_wait_loadcnt_dscnt 0x700
	v_wmma_f32_16x16x16_fp8_fp8 v[0:7], v[116:117], v[8:9], v[0:7]
	s_delay_alu instid0(VALU_DEP_1) | instskip(SKIP_3) | instid1(VALU_DEP_1)
	v_wmma_f32_16x16x16_fp8_fp8 v[0:7], v[118:119], v[10:11], v[0:7]
	flat_load_b128 v[8:11], v[52:53] offset:32
	s_wait_loadcnt 0x7
	v_wmma_f32_16x16x16_fp8_fp8 v[0:7], v[128:129], v[12:13], v[0:7]
	v_wmma_f32_16x16x16_fp8_fp8 v[0:7], v[130:131], v[14:15], v[0:7]
	flat_load_b128 v[12:15], v[52:53] offset:48
	s_wait_loadcnt_dscnt 0x0
	v_wmma_f32_16x16x16_fp8_fp8 v[8:15], v[116:117], v[16:17], v[8:15]
	s_delay_alu instid0(VALU_DEP_1) | instskip(SKIP_2) | instid1(VALU_DEP_1)
	v_wmma_f32_16x16x16_fp8_fp8 v[8:15], v[118:119], v[18:19], v[8:15]
	flat_load_b128 v[16:19], v[52:53] offset:64
	v_wmma_f32_16x16x16_fp8_fp8 v[8:15], v[128:129], v[20:21], v[8:15]
	v_wmma_f32_16x16x16_fp8_fp8 v[8:15], v[130:131], v[22:23], v[8:15]
	flat_load_b128 v[20:23], v[52:53] offset:80
	s_wait_loadcnt_dscnt 0x0
	v_wmma_f32_16x16x16_fp8_fp8 v[16:23], v[116:117], v[24:25], v[16:23]
	s_delay_alu instid0(VALU_DEP_1) | instskip(SKIP_2) | instid1(VALU_DEP_1)
	v_wmma_f32_16x16x16_fp8_fp8 v[16:23], v[118:119], v[26:27], v[16:23]
	flat_load_b128 v[24:27], v[52:53] offset:96
	v_wmma_f32_16x16x16_fp8_fp8 v[16:23], v[128:129], v[28:29], v[16:23]
	v_wmma_f32_16x16x16_fp8_fp8 v[16:23], v[130:131], v[30:31], v[16:23]
	flat_load_b128 v[28:31], v[52:53] offset:112
	s_wait_loadcnt_dscnt 0x0
	v_wmma_f32_16x16x16_fp8_fp8 v[24:31], v[116:117], v[32:33], v[24:31]
	s_delay_alu instid0(VALU_DEP_1) | instskip(SKIP_2) | instid1(VALU_DEP_1)
	v_wmma_f32_16x16x16_fp8_fp8 v[24:31], v[118:119], v[34:35], v[24:31]
	scratch_load_b128 v[32:35], off, s33 offset:800
	v_wmma_f32_16x16x16_fp8_fp8 v[24:31], v[128:129], v[36:37], v[24:31]
	v_wmma_f32_16x16x16_fp8_fp8 v[24:31], v[130:131], v[38:39], v[24:31]
	scratch_load_b128 v[36:39], off, s33 offset:816
	s_wait_loadcnt 0x1
	v_wmma_f32_16x16x16_fp8_fp8 v[0:7], v[98:99], v[32:33], v[0:7]
	s_delay_alu instid0(VALU_DEP_1) | instskip(SKIP_1) | instid1(VALU_DEP_1)
	v_wmma_f32_16x16x16_fp8_fp8 v[0:7], v[100:101], v[34:35], v[0:7]
	s_wait_loadcnt 0x0
	v_wmma_f32_16x16x16_fp8_fp8 v[0:7], v[112:113], v[36:37], v[0:7]
	s_delay_alu instid0(VALU_DEP_1)
	v_wmma_f32_16x16x16_fp8_fp8 v[0:7], v[114:115], v[38:39], v[0:7]
	flat_store_b128 v[52:53], v[0:3]
	scratch_load_b128 v[0:3], off, s33 offset:864
	flat_store_b128 v[52:53], v[4:7] offset:16
	scratch_load_b128 v[4:7], off, s33 offset:880
	s_wait_loadcnt 0x1
	v_nop
	v_wmma_f32_16x16x16_fp8_fp8 v[8:15], v[98:99], v[0:1], v[8:15]
	s_delay_alu instid0(VALU_DEP_1) | instskip(SKIP_3) | instid1(VALU_DEP_1)
	v_wmma_f32_16x16x16_fp8_fp8 v[8:15], v[100:101], v[2:3], v[8:15]
	scratch_load_b128 v[0:3], off, s33 offset:928
	s_wait_loadcnt 0x1
	v_wmma_f32_16x16x16_fp8_fp8 v[8:15], v[112:113], v[4:5], v[8:15]
	v_wmma_f32_16x16x16_fp8_fp8 v[8:15], v[114:115], v[6:7], v[8:15]
	scratch_load_b128 v[4:7], off, s33 offset:944
	s_clause 0x1
	flat_store_b128 v[52:53], v[8:11] offset:32
	flat_store_b128 v[52:53], v[12:15] offset:48
	s_wait_loadcnt 0x1
	v_wmma_f32_16x16x16_fp8_fp8 v[16:23], v[98:99], v[0:1], v[16:23]
	s_delay_alu instid0(VALU_DEP_1) | instskip(SKIP_3) | instid1(VALU_DEP_1)
	v_wmma_f32_16x16x16_fp8_fp8 v[16:23], v[100:101], v[2:3], v[16:23]
	scratch_load_b128 v[0:3], off, s33 offset:992
	s_wait_loadcnt 0x1
	v_wmma_f32_16x16x16_fp8_fp8 v[16:23], v[112:113], v[4:5], v[16:23]
	v_wmma_f32_16x16x16_fp8_fp8 v[16:23], v[114:115], v[6:7], v[16:23]
	scratch_load_b128 v[4:7], off, s33 offset:1008
	s_clause 0x1
	flat_store_b128 v[52:53], v[20:23] offset:80
	flat_store_b128 v[52:53], v[16:19] offset:64
	s_wait_loadcnt 0x1
	v_wmma_f32_16x16x16_fp8_fp8 v[24:31], v[98:99], v[0:1], v[24:31]
	s_delay_alu instid0(VALU_DEP_1) | instskip(SKIP_1) | instid1(VALU_DEP_1)
	v_wmma_f32_16x16x16_fp8_fp8 v[24:31], v[100:101], v[2:3], v[24:31]
	s_wait_loadcnt 0x0
	v_wmma_f32_16x16x16_fp8_fp8 v[24:31], v[112:113], v[4:5], v[24:31]
	s_delay_alu instid0(VALU_DEP_1)
	v_wmma_f32_16x16x16_fp8_fp8 v[24:31], v[114:115], v[6:7], v[24:31]
	s_clause 0x1
	flat_store_b128 v[52:53], v[28:31] offset:112
	flat_store_b128 v[52:53], v[24:27] offset:96
	s_clause 0x3
	flat_load_b64 v[7:8], v[64:65] offset:1148
	flat_load_b64 v[9:10], v[64:65] offset:1164
	flat_load_b128 v[0:3], v[64:65] offset:1176
	flat_load_b96 v[4:6], v[64:65] offset:1132
	s_wait_loadcnt_dscnt 0x202
	v_sub_nc_u32_e32 v7, v7, v10
	s_wait_loadcnt_dscnt 0x101
	v_add_nc_u32_e32 v0, v9, v0
	s_wait_loadcnt_dscnt 0x0
	v_sub_nc_u32_e32 v2, v4, v2
	v_add3_u32 v1, v7, v1, 32
	v_sub_nc_u32_e32 v7, v8, v9
	v_sub_nc_u32_e32 v8, v8, v0
	s_delay_alu instid0(VALU_DEP_3) | instskip(NEXT) | instid1(VALU_DEP_1)
	v_ashrrev_i32_e32 v10, 31, v1
	v_lshrrev_b32_e32 v10, 29, v10
	s_delay_alu instid0(VALU_DEP_1) | instskip(NEXT) | instid1(VALU_DEP_1)
	v_add_nc_u32_e32 v10, v1, v10
	v_and_b32_e32 v10, -8, v10
	s_delay_alu instid0(VALU_DEP_1) | instskip(SKIP_1) | instid1(VALU_DEP_2)
	v_sub_nc_u32_e32 v12, v1, v10
	v_sub_nc_u32_e32 v1, v1, v6
	v_xor_b32_e32 v7, v12, v7
	s_delay_alu instid0(VALU_DEP_2) | instskip(NEXT) | instid1(VALU_DEP_2)
	v_lshlrev_b32_e32 v1, 7, v1
	v_sub_nc_u32_e32 v6, v7, v5
	s_delay_alu instid0(VALU_DEP_2) | instskip(NEXT) | instid1(VALU_DEP_2)
	v_add_nc_u32_e32 v2, v2, v1
	v_lshlrev_b32_e32 v6, 4, v6
	s_delay_alu instid0(VALU_DEP_1)
	v_add3_u32 v10, v1, v4, v6
	flat_load_b64 v[6:7], v[54:55] offset:16
	v_ashrrev_i32_e32 v11, 31, v10
	s_wait_loadcnt_dscnt 0x0
	v_add_co_u32 v10, vcc_lo, v6, v10
	s_wait_alu 0xfffd
	s_delay_alu instid0(VALU_DEP_2) | instskip(SKIP_2) | instid1(VALU_DEP_1)
	v_add_co_ci_u32_e64 v11, null, v7, v11, vcc_lo
	flat_load_b128 v[116:119], v[10:11]
	v_add_nc_u32_e32 v10, 16, v3
	v_ashrrev_i32_e32 v11, 31, v10
	s_delay_alu instid0(VALU_DEP_1) | instskip(NEXT) | instid1(VALU_DEP_1)
	v_lshrrev_b32_e32 v11, 28, v11
	v_add_nc_u32_e32 v11, v10, v11
	s_delay_alu instid0(VALU_DEP_1) | instskip(SKIP_1) | instid1(VALU_DEP_2)
	v_lshrrev_b32_e32 v13, 4, v11
	v_and_b32_e32 v11, -16, v11
	v_add_nc_u32_e32 v0, v13, v8
	s_delay_alu instid0(VALU_DEP_2) | instskip(NEXT) | instid1(VALU_DEP_2)
	v_sub_nc_u32_e32 v10, v10, v11
	v_xor_b32_e32 v0, v0, v12
	s_delay_alu instid0(VALU_DEP_1) | instskip(NEXT) | instid1(VALU_DEP_1)
	v_sub_nc_u32_e32 v0, v0, v5
	v_lshlrev_b32_e32 v0, 4, v0
	s_delay_alu instid0(VALU_DEP_1) | instskip(NEXT) | instid1(VALU_DEP_1)
	v_add3_u32 v0, v10, v2, v0
	v_ashrrev_i32_e32 v1, 31, v0
	v_add_co_u32 v0, vcc_lo, v6, v0
	s_wait_alu 0xfffd
	s_delay_alu instid0(VALU_DEP_2) | instskip(SKIP_2) | instid1(VALU_DEP_1)
	v_add_co_ci_u32_e64 v1, null, v7, v1, vcc_lo
	flat_load_b128 v[128:131], v[0:1]
	v_add_nc_u32_e32 v0, 64, v3
	v_ashrrev_i32_e32 v1, 31, v0
	s_delay_alu instid0(VALU_DEP_1) | instskip(NEXT) | instid1(VALU_DEP_1)
	v_lshrrev_b32_e32 v1, 28, v1
	v_add_nc_u32_e32 v1, v0, v1
	s_delay_alu instid0(VALU_DEP_1) | instskip(SKIP_1) | instid1(VALU_DEP_1)
	v_lshrrev_b32_e32 v4, 4, v1
	v_and_b32_e32 v1, -16, v1
	v_sub_nc_u32_e32 v0, v0, v1
	s_delay_alu instid0(VALU_DEP_3) | instskip(NEXT) | instid1(VALU_DEP_1)
	v_add_nc_u32_e32 v1, v4, v8
	v_xor_b32_e32 v1, v1, v12
	s_delay_alu instid0(VALU_DEP_1) | instskip(NEXT) | instid1(VALU_DEP_1)
	v_sub_nc_u32_e32 v1, v1, v5
	v_lshlrev_b32_e32 v1, 4, v1
	s_delay_alu instid0(VALU_DEP_1) | instskip(NEXT) | instid1(VALU_DEP_1)
	v_add3_u32 v0, v0, v2, v1
	v_ashrrev_i32_e32 v1, 31, v0
	v_add_co_u32 v0, vcc_lo, v6, v0
	s_wait_alu 0xfffd
	s_delay_alu instid0(VALU_DEP_2) | instskip(SKIP_2) | instid1(VALU_DEP_1)
	v_add_co_ci_u32_e64 v1, null, v7, v1, vcc_lo
	flat_load_b128 v[98:101], v[0:1]
	v_add_nc_u32_e32 v0, 0x50, v3
	v_ashrrev_i32_e32 v1, 31, v0
	s_delay_alu instid0(VALU_DEP_1) | instskip(NEXT) | instid1(VALU_DEP_1)
	v_lshrrev_b32_e32 v1, 28, v1
	v_add_nc_u32_e32 v1, v0, v1
	s_delay_alu instid0(VALU_DEP_1) | instskip(SKIP_1) | instid1(VALU_DEP_1)
	v_lshrrev_b32_e32 v3, 4, v1
	v_and_b32_e32 v1, -16, v1
	v_sub_nc_u32_e32 v0, v0, v1
	s_delay_alu instid0(VALU_DEP_3) | instskip(SKIP_1) | instid1(VALU_DEP_2)
	v_add_nc_u32_e32 v1, v3, v8
	v_mov_b32_e32 v3, s15
	v_xor_b32_e32 v1, v1, v12
	s_delay_alu instid0(VALU_DEP_1) | instskip(NEXT) | instid1(VALU_DEP_1)
	v_sub_nc_u32_e32 v1, v1, v5
	v_lshlrev_b32_e32 v1, 4, v1
	s_delay_alu instid0(VALU_DEP_1) | instskip(SKIP_1) | instid1(VALU_DEP_2)
	v_add3_u32 v0, v0, v2, v1
	v_mov_b32_e32 v2, s14
	v_ashrrev_i32_e32 v1, 31, v0
	v_add_co_u32 v0, vcc_lo, v6, v0
	s_wait_alu 0xfffd
	s_delay_alu instid0(VALU_DEP_2)
	v_add_co_ci_u32_e64 v1, null, v7, v1, vcc_lo
	flat_load_b128 v[112:115], v[0:1]
	v_dual_mov_b32 v0, s12 :: v_dual_mov_b32 v1, s13
	s_wait_alu 0xfffe
	s_swappc_b64 s[30:31], s[0:1]
	; sched_group_barrier mask(0x00000008) size(4) SyncID(0)
	; sched_group_barrier mask(0x00000020) size(1) SyncID(0)
	;; [unrolled: 1-line block ×24, first 2 shown]
	; sched_barrier mask(0x00000000)
	s_clause 0x8
	flat_load_u8 v4, v[66:67] offset:288
	flat_load_u8 v8, v[66:67] offset:304
	flat_load_b128 v[0:3], v[66:67]
	flat_load_u8 v12, v[66:67] offset:320
	flat_load_u8 v16, v[66:67] offset:336
	;; [unrolled: 1-line block ×6, first 2 shown]
	s_wait_loadcnt_dscnt 0x808
	v_and_b32_e32 v4, 1, v4
	s_wait_loadcnt_dscnt 0x707
	v_and_b32_e32 v8, 1, v8
	;; [unrolled: 2-line block ×4, first 2 shown]
	v_cmp_eq_u32_e32 vcc_lo, 1, v4
	flat_load_b128 v[4:7], v[66:67] offset:16
	s_wait_loadcnt_dscnt 0x404
	v_and_b32_e32 v20, 1, v20
	s_wait_loadcnt_dscnt 0x303
	v_and_b32_e32 v24, 1, v24
	s_wait_loadcnt_dscnt 0x202
	s_wait_alu 0xfffd
	v_dual_cndmask_b32 v3, 0, v3 :: v_dual_and_b32 v28, 1, v28
	v_dual_cndmask_b32 v2, 0, v2 :: v_dual_cndmask_b32 v1, 0, v1
	v_cndmask_b32_e32 v0, 0, v0, vcc_lo
	v_cmp_eq_u32_e32 vcc_lo, 1, v8
	flat_load_b128 v[8:11], v[66:67] offset:32
	s_wait_loadcnt_dscnt 0x202
	v_and_b32_e32 v31, 1, v31
	s_clause 0x1
	flat_store_b128 v[66:67], v[0:3]
	flat_store_b128 v[66:67], v[0:3] offset:560
	s_wait_loadcnt_dscnt 0x103
	s_wait_alu 0xfffd
	v_dual_cndmask_b32 v7, 0, v7 :: v_dual_cndmask_b32 v6, 0, v6
	v_dual_cndmask_b32 v5, 0, v5 :: v_dual_cndmask_b32 v4, 0, v4
	v_cmp_eq_u32_e32 vcc_lo, 1, v12
	flat_load_b128 v[12:15], v[66:67] offset:48
	flat_store_b128 v[66:67], v[4:7] offset:16
	s_wait_loadcnt_dscnt 0x104
	s_wait_alu 0xfffd
	v_dual_cndmask_b32 v11, 0, v11 :: v_dual_cndmask_b32 v10, 0, v10
	v_dual_cndmask_b32 v9, 0, v9 :: v_dual_cndmask_b32 v8, 0, v8
	v_cmp_eq_u32_e32 vcc_lo, 1, v16
	flat_load_b128 v[16:19], v[66:67] offset:64
	v_perm_b32 v4, v4, v4, 0x3020104
	v_alignbit_b32 v7, v7, v6, 24
	v_perm_b32 v6, v6, v6, 0x3060504
	s_clause 0x1
	flat_store_b128 v[66:67], v[8:11] offset:32
	flat_store_b96 v[66:67], v[4:6] offset:576
	flat_load_b32 v4, v[66:67] offset:31
	v_alignbit_b32 v5, v9, v8, 24
	v_perm_b32 v6, v9, v10, 0x2010007
	s_wait_loadcnt_dscnt 0x205
	s_wait_alu 0xfffd
	v_dual_cndmask_b32 v15, 0, v15 :: v_dual_cndmask_b32 v14, 0, v14
	v_dual_cndmask_b32 v13, 0, v13 :: v_dual_cndmask_b32 v12, 0, v12
	v_cmp_eq_u32_e32 vcc_lo, 1, v20
	flat_load_b128 v[20:23], v[66:67] offset:80
	flat_store_b128 v[66:67], v[12:15] offset:48
	s_wait_loadcnt_dscnt 0x205
	s_wait_alu 0xfffd
	v_dual_cndmask_b32 v19, 0, v19 :: v_dual_cndmask_b32 v18, 0, v18
	v_dual_cndmask_b32 v17, 0, v17 :: v_dual_cndmask_b32 v16, 0, v16
	v_cmp_eq_u32_e32 vcc_lo, 1, v24
	flat_load_b128 v[24:27], v[66:67] offset:96
	flat_store_b128 v[66:67], v[16:19] offset:64
	s_wait_loadcnt_dscnt 0x103
	s_wait_alu 0xfffd
	v_dual_cndmask_b32 v23, 0, v23 :: v_dual_cndmask_b32 v22, 0, v22
	v_dual_cndmask_b32 v21, 0, v21 :: v_dual_cndmask_b32 v20, 0, v20
	v_cmp_eq_u32_e32 vcc_lo, 1, v28
	flat_store_b128 v[66:67], v[20:23] offset:80
	s_wait_loadcnt_dscnt 0x2
	s_wait_alu 0xfffd
	v_dual_cndmask_b32 v25, 0, v25 :: v_dual_cndmask_b32 v24, 0, v24
	v_dual_cndmask_b32 v27, 0, v27 :: v_dual_cndmask_b32 v26, 0, v26
	v_cmp_eq_u32_e32 vcc_lo, 1, v31
	flat_store_b128 v[66:67], v[24:27] offset:96
	flat_load_b128 v[27:30], v[66:67] offset:112
	s_wait_loadcnt_dscnt 0x0
	s_wait_alu 0xfffd
	v_dual_cndmask_b32 v30, 0, v30 :: v_dual_cndmask_b32 v29, 0, v29
	v_dual_cndmask_b32 v28, 0, v28 :: v_dual_cndmask_b32 v27, 0, v27
	flat_store_b128 v[66:67], v[27:30] offset:112
	v_lshrrev_b32_e32 v27, 16, v7
	v_lshrrev_b32_e32 v28, 8, v7
	v_lshrrev_b32_e32 v7, 24, v7
	s_delay_alu instid0(VALU_DEP_3) | instskip(NEXT) | instid1(VALU_DEP_3)
	v_lshlrev_b16 v27, 8, v27
	v_and_b32_e32 v28, 0xff, v28
	flat_store_b8 v[66:67], v7 offset:590
	v_alignbit_b32 v7, v11, v10, 24
	flat_load_u8 v11, v[66:67] offset:127
	v_or_b32_e32 v27, v28, v27
	flat_store_b128 v[66:67], v[4:7] offset:591
	flat_load_b32 v4, v[66:67] offset:47
	v_alignbit_b32 v5, v13, v12, 24
	v_perm_b32 v6, v13, v14, 0x2010007
	v_alignbit_b32 v7, v15, v14, 24
	flat_store_b16 v[66:67], v27 offset:588
	s_wait_loadcnt_dscnt 0x103
	flat_store_b8 v[66:67], v11 offset:687
	s_wait_loadcnt_dscnt 0x2
	flat_store_b128 v[66:67], v[4:7] offset:607
	flat_load_b32 v4, v[66:67] offset:63
	v_alignbit_b32 v5, v17, v16, 24
	v_perm_b32 v6, v17, v18, 0x2010007
	v_alignbit_b32 v7, v19, v18, 24
	s_wait_loadcnt_dscnt 0x0
	flat_store_b128 v[66:67], v[4:7] offset:623
	flat_load_b32 v4, v[66:67] offset:79
	v_alignbit_b32 v5, v21, v20, 24
	v_perm_b32 v6, v21, v22, 0x2010007
	v_alignbit_b32 v7, v23, v22, 24
	s_wait_loadcnt_dscnt 0x0
	flat_store_b128 v[66:67], v[4:7] offset:639
	s_clause 0x1
	flat_load_b32 v4, v[66:67] offset:95
	flat_load_b128 v[7:10], v[66:67] offset:107
	v_alignbit_b32 v5, v25, v24, 24
	v_perm_b32 v6, v25, v26, 0x2010007
	s_wait_loadcnt_dscnt 0x0
	flat_store_b128 v[66:67], v[4:7] offset:655
	flat_load_b32 v7, v[66:67] offset:123
	v_dual_mov_b32 v4, v8 :: v_dual_mov_b32 v5, v9
	v_mov_b32_e32 v6, v10
	s_wait_loadcnt_dscnt 0x0
	flat_store_b128 v[66:67], v[4:7] offset:671
	flat_load_b32 v6, v[66:67] offset:728
	flat_load_b64 v[4:5], v[54:55]
	s_wait_loadcnt_dscnt 0x101
	v_ashrrev_i32_e32 v7, 31, v6
	s_wait_loadcnt_dscnt 0x0
	v_add_co_u32 v4, vcc_lo, v4, v6
	s_wait_alu 0xfffd
	s_delay_alu instid0(VALU_DEP_2)
	v_add_co_ci_u32_e64 v5, null, v5, v7, vcc_lo
	flat_store_b128 v[4:5], v[0:3]
	s_clause 0x1
	flat_load_b32 v0, v[66:67] offset:776
	flat_load_b32 v1, v[66:67] offset:744
	s_wait_loadcnt_dscnt 0x101
	v_add_nc_u32_e32 v103, 1, v0
	flat_load_b32 v0, v[66:67] offset:764
	flat_store_b32 v[66:67], v103 offset:776
	s_wait_loadcnt_dscnt 0x1
	v_sub_nc_u32_e32 v0, v103, v0
	s_delay_alu instid0(VALU_DEP_1)
	v_add_nc_u32_e32 v4, v1, v0
	flat_load_b128 v[0:3], v[66:67] offset:748
	flat_store_b64 v[66:67], v[102:103] offset:760
	s_wait_loadcnt_dscnt 0x1
	v_sub_nc_u32_e32 v5, v0, v3
	flat_load_b96 v[0:2], v[66:67] offset:728
	v_ashrrev_i32_e32 v3, 31, v4
	flat_store_b64 v[66:67], v[4:5] offset:744
	v_lshrrev_b32_e32 v3, 29, v3
	s_delay_alu instid0(VALU_DEP_1) | instskip(NEXT) | instid1(VALU_DEP_1)
	v_add_nc_u32_e32 v3, v4, v3
	v_and_b32_e32 v3, -8, v3
	s_delay_alu instid0(VALU_DEP_1) | instskip(NEXT) | instid1(VALU_DEP_1)
	v_sub_nc_u32_e32 v3, v4, v3
	v_xor_b32_e32 v3, v5, v3
	s_wait_loadcnt_dscnt 0x1
	v_sub_nc_u32_e32 v2, v4, v2
	s_delay_alu instid0(VALU_DEP_2) | instskip(NEXT) | instid1(VALU_DEP_2)
	v_sub_nc_u32_e32 v1, v3, v1
	v_lshlrev_b32_e32 v2, 7, v2
	s_delay_alu instid0(VALU_DEP_2) | instskip(NEXT) | instid1(VALU_DEP_1)
	v_lshlrev_b32_e32 v1, 4, v1
	v_add3_u32 v2, v2, v1, v0
	flat_store_b96 v[66:67], v[2:4] offset:728
	flat_load_b64 v[0:1], v[54:55]
	v_ashrrev_i32_e32 v3, 31, v2
	s_wait_loadcnt_dscnt 0x0
	v_add_co_u32 v4, vcc_lo, v0, v2
	s_wait_alu 0xfffd
	s_delay_alu instid0(VALU_DEP_2)
	v_add_co_ci_u32_e64 v5, null, v1, v3, vcc_lo
	flat_load_b128 v[0:3], v[66:67] offset:576
	s_wait_loadcnt_dscnt 0x0
	flat_store_b128 v[4:5], v[0:3]
	s_clause 0x1
	flat_load_b32 v0, v[66:67] offset:776
	flat_load_b32 v1, v[66:67] offset:744
	s_wait_loadcnt_dscnt 0x101
	v_add_nc_u32_e32 v103, 1, v0
	flat_load_b32 v0, v[66:67] offset:764
	flat_store_b32 v[66:67], v103 offset:776
	s_wait_loadcnt_dscnt 0x1
	v_sub_nc_u32_e32 v0, v103, v0
	s_delay_alu instid0(VALU_DEP_1)
	v_add_nc_u32_e32 v4, v1, v0
	flat_load_b128 v[0:3], v[66:67] offset:748
	flat_store_b64 v[66:67], v[102:103] offset:760
	s_wait_loadcnt_dscnt 0x1
	v_sub_nc_u32_e32 v5, v0, v3
	flat_load_b96 v[0:2], v[66:67] offset:728
	v_ashrrev_i32_e32 v3, 31, v4
	flat_store_b64 v[66:67], v[4:5] offset:744
	v_lshrrev_b32_e32 v3, 29, v3
	s_delay_alu instid0(VALU_DEP_1) | instskip(NEXT) | instid1(VALU_DEP_1)
	v_add_nc_u32_e32 v3, v4, v3
	v_and_b32_e32 v3, -8, v3
	s_delay_alu instid0(VALU_DEP_1) | instskip(NEXT) | instid1(VALU_DEP_1)
	v_sub_nc_u32_e32 v3, v4, v3
	v_xor_b32_e32 v3, v5, v3
	s_wait_loadcnt_dscnt 0x1
	v_sub_nc_u32_e32 v2, v4, v2
	s_delay_alu instid0(VALU_DEP_2) | instskip(NEXT) | instid1(VALU_DEP_2)
	v_sub_nc_u32_e32 v1, v3, v1
	v_lshlrev_b32_e32 v2, 7, v2
	s_delay_alu instid0(VALU_DEP_2) | instskip(NEXT) | instid1(VALU_DEP_1)
	v_lshlrev_b32_e32 v1, 4, v1
	v_add3_u32 v2, v2, v1, v0
	flat_store_b96 v[66:67], v[2:4] offset:728
	flat_load_b64 v[0:1], v[54:55]
	v_ashrrev_i32_e32 v3, 31, v2
	s_wait_loadcnt_dscnt 0x0
	v_add_co_u32 v4, vcc_lo, v0, v2
	s_wait_alu 0xfffd
	s_delay_alu instid0(VALU_DEP_2)
	v_add_co_ci_u32_e64 v5, null, v1, v3, vcc_lo
	flat_load_b128 v[0:3], v[66:67] offset:592
	s_wait_loadcnt_dscnt 0x0
	;; [unrolled: 44-line block ×7, first 2 shown]
	flat_store_b128 v[4:5], v[0:3]
	flat_load_b32 v0, v[66:67] offset:776
	s_clause 0x7
	scratch_load_b128 v[8:11], off, s33 offset:768
	scratch_load_b128 v[12:15], off, s33 offset:784
	;; [unrolled: 1-line block ×8, first 2 shown]
	s_wait_loadcnt_dscnt 0x800
	v_add_nc_u32_e32 v103, -7, v0
	flat_load_b64 v[0:1], v[66:67] offset:760
	s_clause 0x1
	flat_store_b32 v[66:67], v103 offset:776
	flat_store_b64 v[66:67], v[102:103] offset:760
	s_wait_loadcnt_dscnt 0x2
	v_sub_nc_u32_e32 v3, v103, v1
	flat_load_b64 v[1:2], v[66:67] offset:744
	s_wait_loadcnt_dscnt 0x0
	v_add_nc_u32_e32 v4, v1, v3
	v_sub_nc_u32_e32 v5, v2, v0
	flat_load_b96 v[0:2], v[66:67] offset:728
	v_ashrrev_i32_e32 v3, 31, v4
	flat_store_b64 v[66:67], v[4:5] offset:744
	v_lshrrev_b32_e32 v3, 29, v3
	s_delay_alu instid0(VALU_DEP_1) | instskip(NEXT) | instid1(VALU_DEP_1)
	v_add_nc_u32_e32 v3, v4, v3
	v_and_b32_e32 v3, -8, v3
	s_delay_alu instid0(VALU_DEP_1) | instskip(NEXT) | instid1(VALU_DEP_1)
	v_sub_nc_u32_e32 v3, v4, v3
	v_xor_b32_e32 v3, v5, v3
	s_wait_loadcnt_dscnt 0x1
	v_sub_nc_u32_e32 v2, v4, v2
	s_delay_alu instid0(VALU_DEP_2) | instskip(NEXT) | instid1(VALU_DEP_2)
	v_sub_nc_u32_e32 v1, v3, v1
	v_lshlrev_b32_e32 v2, 7, v2
	s_delay_alu instid0(VALU_DEP_2) | instskip(NEXT) | instid1(VALU_DEP_1)
	v_lshlrev_b32_e32 v1, 4, v1
	v_add3_u32 v2, v2, v1, v0
	flat_store_b96 v[66:67], v[2:4] offset:728
	s_clause 0x1
	flat_load_b128 v[4:7], v[52:53] offset:144
	flat_load_b128 v[0:3], v[52:53] offset:128
	s_wait_loadcnt_dscnt 0x0
	v_wmma_f32_16x16x16_fp8_fp8 v[0:7], v[116:117], v[8:9], v[0:7]
	s_delay_alu instid0(VALU_DEP_1) | instskip(SKIP_2) | instid1(VALU_DEP_1)
	v_wmma_f32_16x16x16_fp8_fp8 v[0:7], v[118:119], v[10:11], v[0:7]
	flat_load_b128 v[8:11], v[52:53] offset:160
	v_wmma_f32_16x16x16_fp8_fp8 v[0:7], v[128:129], v[12:13], v[0:7]
	v_wmma_f32_16x16x16_fp8_fp8 v[0:7], v[130:131], v[14:15], v[0:7]
	flat_load_b128 v[12:15], v[52:53] offset:176
	s_wait_loadcnt_dscnt 0x0
	v_wmma_f32_16x16x16_fp8_fp8 v[8:15], v[116:117], v[16:17], v[8:15]
	s_delay_alu instid0(VALU_DEP_1) | instskip(SKIP_2) | instid1(VALU_DEP_1)
	v_wmma_f32_16x16x16_fp8_fp8 v[8:15], v[118:119], v[18:19], v[8:15]
	flat_load_b128 v[16:19], v[52:53] offset:192
	v_wmma_f32_16x16x16_fp8_fp8 v[8:15], v[128:129], v[20:21], v[8:15]
	v_wmma_f32_16x16x16_fp8_fp8 v[8:15], v[130:131], v[22:23], v[8:15]
	;; [unrolled: 8-line block ×3, first 2 shown]
	flat_load_b128 v[28:31], v[52:53] offset:240
	s_wait_loadcnt_dscnt 0x0
	v_wmma_f32_16x16x16_fp8_fp8 v[24:31], v[116:117], v[32:33], v[24:31]
	s_delay_alu instid0(VALU_DEP_1) | instskip(SKIP_2) | instid1(VALU_DEP_1)
	v_wmma_f32_16x16x16_fp8_fp8 v[24:31], v[118:119], v[34:35], v[24:31]
	scratch_load_b128 v[32:35], off, s33 offset:800
	v_wmma_f32_16x16x16_fp8_fp8 v[24:31], v[128:129], v[36:37], v[24:31]
	v_wmma_f32_16x16x16_fp8_fp8 v[24:31], v[130:131], v[38:39], v[24:31]
	scratch_load_b128 v[36:39], off, s33 offset:816
	s_wait_loadcnt 0x1
	v_wmma_f32_16x16x16_fp8_fp8 v[0:7], v[98:99], v[32:33], v[0:7]
	s_delay_alu instid0(VALU_DEP_1) | instskip(SKIP_1) | instid1(VALU_DEP_1)
	v_wmma_f32_16x16x16_fp8_fp8 v[0:7], v[100:101], v[34:35], v[0:7]
	s_wait_loadcnt 0x0
	v_wmma_f32_16x16x16_fp8_fp8 v[0:7], v[112:113], v[36:37], v[0:7]
	s_delay_alu instid0(VALU_DEP_1)
	v_wmma_f32_16x16x16_fp8_fp8 v[0:7], v[114:115], v[38:39], v[0:7]
	flat_store_b128 v[52:53], v[0:3] offset:128
	scratch_load_b128 v[0:3], off, s33 offset:864
	flat_store_b128 v[52:53], v[4:7] offset:144
	scratch_load_b128 v[4:7], off, s33 offset:880
	s_wait_loadcnt 0x1
	v_nop
	v_wmma_f32_16x16x16_fp8_fp8 v[8:15], v[98:99], v[0:1], v[8:15]
	s_delay_alu instid0(VALU_DEP_1) | instskip(SKIP_3) | instid1(VALU_DEP_1)
	v_wmma_f32_16x16x16_fp8_fp8 v[8:15], v[100:101], v[2:3], v[8:15]
	scratch_load_b128 v[0:3], off, s33 offset:928
	s_wait_loadcnt 0x1
	v_wmma_f32_16x16x16_fp8_fp8 v[8:15], v[112:113], v[4:5], v[8:15]
	v_wmma_f32_16x16x16_fp8_fp8 v[8:15], v[114:115], v[6:7], v[8:15]
	scratch_load_b128 v[4:7], off, s33 offset:944
	s_clause 0x1
	flat_store_b128 v[52:53], v[12:15] offset:176
	flat_store_b128 v[52:53], v[8:11] offset:160
	s_wait_loadcnt 0x1
	v_wmma_f32_16x16x16_fp8_fp8 v[16:23], v[98:99], v[0:1], v[16:23]
	s_delay_alu instid0(VALU_DEP_1) | instskip(SKIP_3) | instid1(VALU_DEP_1)
	v_wmma_f32_16x16x16_fp8_fp8 v[16:23], v[100:101], v[2:3], v[16:23]
	scratch_load_b128 v[0:3], off, s33 offset:992
	s_wait_loadcnt 0x1
	v_wmma_f32_16x16x16_fp8_fp8 v[16:23], v[112:113], v[4:5], v[16:23]
	v_wmma_f32_16x16x16_fp8_fp8 v[16:23], v[114:115], v[6:7], v[16:23]
	scratch_load_b128 v[4:7], off, s33 offset:1008
	s_clause 0x1
	flat_store_b128 v[52:53], v[20:23] offset:208
	flat_store_b128 v[52:53], v[16:19] offset:192
	s_wait_loadcnt 0x1
	v_wmma_f32_16x16x16_fp8_fp8 v[24:31], v[98:99], v[0:1], v[24:31]
	s_delay_alu instid0(VALU_DEP_1) | instskip(SKIP_1) | instid1(VALU_DEP_1)
	v_wmma_f32_16x16x16_fp8_fp8 v[24:31], v[100:101], v[2:3], v[24:31]
	s_wait_loadcnt 0x0
	v_wmma_f32_16x16x16_fp8_fp8 v[24:31], v[112:113], v[4:5], v[24:31]
	s_delay_alu instid0(VALU_DEP_1)
	v_wmma_f32_16x16x16_fp8_fp8 v[24:31], v[114:115], v[6:7], v[24:31]
	s_clause 0x1
	flat_store_b128 v[52:53], v[28:31] offset:240
	flat_store_b128 v[52:53], v[24:27] offset:224
	s_clause 0x3
	flat_load_b64 v[7:8], v[64:65] offset:1148
	flat_load_b64 v[9:10], v[64:65] offset:1164
	flat_load_b128 v[0:3], v[64:65] offset:1176
	flat_load_b96 v[4:6], v[64:65] offset:1132
	s_wait_loadcnt_dscnt 0x202
	v_sub_nc_u32_e32 v7, v7, v10
	s_wait_loadcnt_dscnt 0x101
	v_add_nc_u32_e32 v0, v9, v0
	s_wait_loadcnt_dscnt 0x0
	v_sub_nc_u32_e32 v2, v4, v2
	v_add3_u32 v1, v7, v1, 64
	v_sub_nc_u32_e32 v7, v8, v9
	v_sub_nc_u32_e32 v8, v8, v0
	s_delay_alu instid0(VALU_DEP_3) | instskip(NEXT) | instid1(VALU_DEP_1)
	v_ashrrev_i32_e32 v10, 31, v1
	v_lshrrev_b32_e32 v10, 29, v10
	s_delay_alu instid0(VALU_DEP_1) | instskip(NEXT) | instid1(VALU_DEP_1)
	v_add_nc_u32_e32 v10, v1, v10
	v_and_b32_e32 v10, -8, v10
	s_delay_alu instid0(VALU_DEP_1) | instskip(SKIP_1) | instid1(VALU_DEP_2)
	v_sub_nc_u32_e32 v12, v1, v10
	v_sub_nc_u32_e32 v1, v1, v6
	v_xor_b32_e32 v7, v12, v7
	s_delay_alu instid0(VALU_DEP_2) | instskip(NEXT) | instid1(VALU_DEP_2)
	v_lshlrev_b32_e32 v1, 7, v1
	v_sub_nc_u32_e32 v6, v7, v5
	s_delay_alu instid0(VALU_DEP_2) | instskip(NEXT) | instid1(VALU_DEP_2)
	v_add_nc_u32_e32 v2, v2, v1
	v_lshlrev_b32_e32 v6, 4, v6
	s_delay_alu instid0(VALU_DEP_1)
	v_add3_u32 v10, v1, v4, v6
	flat_load_b64 v[6:7], v[54:55] offset:16
	v_ashrrev_i32_e32 v11, 31, v10
	s_wait_loadcnt_dscnt 0x0
	v_add_co_u32 v10, vcc_lo, v6, v10
	s_wait_alu 0xfffd
	s_delay_alu instid0(VALU_DEP_2) | instskip(SKIP_2) | instid1(VALU_DEP_1)
	v_add_co_ci_u32_e64 v11, null, v7, v11, vcc_lo
	flat_load_b128 v[116:119], v[10:11]
	v_add_nc_u32_e32 v10, 16, v3
	v_ashrrev_i32_e32 v11, 31, v10
	s_delay_alu instid0(VALU_DEP_1) | instskip(NEXT) | instid1(VALU_DEP_1)
	v_lshrrev_b32_e32 v11, 28, v11
	v_add_nc_u32_e32 v11, v10, v11
	s_delay_alu instid0(VALU_DEP_1) | instskip(SKIP_1) | instid1(VALU_DEP_2)
	v_lshrrev_b32_e32 v13, 4, v11
	v_and_b32_e32 v11, -16, v11
	v_add_nc_u32_e32 v0, v13, v8
	s_delay_alu instid0(VALU_DEP_2) | instskip(NEXT) | instid1(VALU_DEP_2)
	v_sub_nc_u32_e32 v10, v10, v11
	v_xor_b32_e32 v0, v0, v12
	s_delay_alu instid0(VALU_DEP_1) | instskip(NEXT) | instid1(VALU_DEP_1)
	v_sub_nc_u32_e32 v0, v0, v5
	v_lshlrev_b32_e32 v0, 4, v0
	s_delay_alu instid0(VALU_DEP_1) | instskip(NEXT) | instid1(VALU_DEP_1)
	v_add3_u32 v0, v10, v2, v0
	v_ashrrev_i32_e32 v1, 31, v0
	v_add_co_u32 v0, vcc_lo, v6, v0
	s_wait_alu 0xfffd
	s_delay_alu instid0(VALU_DEP_2) | instskip(SKIP_2) | instid1(VALU_DEP_1)
	v_add_co_ci_u32_e64 v1, null, v7, v1, vcc_lo
	flat_load_b128 v[128:131], v[0:1]
	v_add_nc_u32_e32 v0, 64, v3
	v_ashrrev_i32_e32 v1, 31, v0
	s_delay_alu instid0(VALU_DEP_1) | instskip(NEXT) | instid1(VALU_DEP_1)
	v_lshrrev_b32_e32 v1, 28, v1
	v_add_nc_u32_e32 v1, v0, v1
	s_delay_alu instid0(VALU_DEP_1) | instskip(SKIP_1) | instid1(VALU_DEP_1)
	v_lshrrev_b32_e32 v4, 4, v1
	v_and_b32_e32 v1, -16, v1
	v_sub_nc_u32_e32 v0, v0, v1
	s_delay_alu instid0(VALU_DEP_3) | instskip(NEXT) | instid1(VALU_DEP_1)
	v_add_nc_u32_e32 v1, v4, v8
	v_xor_b32_e32 v1, v1, v12
	s_delay_alu instid0(VALU_DEP_1) | instskip(NEXT) | instid1(VALU_DEP_1)
	v_sub_nc_u32_e32 v1, v1, v5
	v_lshlrev_b32_e32 v1, 4, v1
	s_delay_alu instid0(VALU_DEP_1) | instskip(NEXT) | instid1(VALU_DEP_1)
	v_add3_u32 v0, v0, v2, v1
	v_ashrrev_i32_e32 v1, 31, v0
	v_add_co_u32 v0, vcc_lo, v6, v0
	s_wait_alu 0xfffd
	s_delay_alu instid0(VALU_DEP_2) | instskip(SKIP_2) | instid1(VALU_DEP_1)
	v_add_co_ci_u32_e64 v1, null, v7, v1, vcc_lo
	flat_load_b128 v[98:101], v[0:1]
	v_add_nc_u32_e32 v0, 0x50, v3
	v_ashrrev_i32_e32 v1, 31, v0
	s_delay_alu instid0(VALU_DEP_1) | instskip(NEXT) | instid1(VALU_DEP_1)
	v_lshrrev_b32_e32 v1, 28, v1
	v_add_nc_u32_e32 v1, v0, v1
	s_delay_alu instid0(VALU_DEP_1) | instskip(SKIP_1) | instid1(VALU_DEP_1)
	v_lshrrev_b32_e32 v3, 4, v1
	v_and_b32_e32 v1, -16, v1
	v_sub_nc_u32_e32 v0, v0, v1
	s_delay_alu instid0(VALU_DEP_3) | instskip(SKIP_1) | instid1(VALU_DEP_2)
	v_add_nc_u32_e32 v1, v3, v8
	v_mov_b32_e32 v3, s15
	v_xor_b32_e32 v1, v1, v12
	s_delay_alu instid0(VALU_DEP_1) | instskip(NEXT) | instid1(VALU_DEP_1)
	v_sub_nc_u32_e32 v1, v1, v5
	v_lshlrev_b32_e32 v1, 4, v1
	s_delay_alu instid0(VALU_DEP_1) | instskip(SKIP_1) | instid1(VALU_DEP_2)
	v_add3_u32 v0, v0, v2, v1
	v_mov_b32_e32 v2, s14
	v_ashrrev_i32_e32 v1, 31, v0
	v_add_co_u32 v0, vcc_lo, v6, v0
	s_wait_alu 0xfffd
	s_delay_alu instid0(VALU_DEP_2)
	v_add_co_ci_u32_e64 v1, null, v7, v1, vcc_lo
	flat_load_b128 v[112:115], v[0:1]
	v_dual_mov_b32 v0, s12 :: v_dual_mov_b32 v1, s13
	s_wait_alu 0xfffe
	s_swappc_b64 s[30:31], s[0:1]
	; sched_group_barrier mask(0x00000008) size(3) SyncID(0)
	; sched_group_barrier mask(0x00000200) size(1) SyncID(0)
	; sched_group_barrier mask(0x00000008) size(1) SyncID(0)
	; sched_group_barrier mask(0x00000100) size(1) SyncID(0)
	; sched_group_barrier mask(0x00000008) size(3) SyncID(0)
	; sched_group_barrier mask(0x00000200) size(1) SyncID(0)
	; sched_group_barrier mask(0x00000008) size(1) SyncID(0)
	; sched_group_barrier mask(0x00000100) size(1) SyncID(0)
	; sched_group_barrier mask(0x00000008) size(3) SyncID(0)
	; sched_group_barrier mask(0x00000200) size(1) SyncID(0)
	; sched_group_barrier mask(0x00000008) size(1) SyncID(0)
	; sched_group_barrier mask(0x00000100) size(1) SyncID(0)
	; sched_group_barrier mask(0x00000008) size(3) SyncID(0)
	; sched_group_barrier mask(0x00000200) size(1) SyncID(0)
	; sched_group_barrier mask(0x00000008) size(1) SyncID(0)
	; sched_group_barrier mask(0x00000100) size(1) SyncID(0)
	; sched_group_barrier mask(0x00000008) size(4) SyncID(0)
	; sched_group_barrier mask(0x00000200) size(1) SyncID(0)
	; sched_group_barrier mask(0x00000008) size(4) SyncID(0)
	; sched_group_barrier mask(0x00000200) size(1) SyncID(0)
	; sched_group_barrier mask(0x00000008) size(4) SyncID(0)
	; sched_group_barrier mask(0x00000200) size(1) SyncID(0)
	; sched_group_barrier mask(0x00000008) size(4) SyncID(0)
	; sched_group_barrier mask(0x00000200) size(1) SyncID(0)
	; sched_barrier mask(0x00000000)
	flat_store_b8 v[66:67], v135 offset:288
	flat_load_b128 v[0:3], v[86:87]
	flat_load_b64 v[11:12], v[66:67] offset:704
	s_wait_loadcnt_dscnt 0x101
	v_mov_b32_e32 v3, v133
	s_mov_b32 s1, exec_lo
	v_and_b32_e32 v1, 0xffff, v1
.LBB8_123:                              ;   Parent Loop BB8_64 Depth=1
                                        ; =>  This Inner Loop Header: Depth=2
	v_readfirstlane_b32 s8, v0
	s_delay_alu instid0(VALU_DEP_2) | instskip(SKIP_3) | instid1(VALU_DEP_3)
	v_readfirstlane_b32 s9, v1
	v_readfirstlane_b32 s10, v2
	;; [unrolled: 1-line block ×3, first 2 shown]
	s_wait_alu 0xf1ff
	v_cmp_eq_u64_e32 vcc_lo, s[8:9], v[0:1]
	s_delay_alu instid0(VALU_DEP_2)
	v_cmp_eq_u64_e64 s0, s[10:11], v[2:3]
	s_and_b32 s0, vcc_lo, s0
	s_wait_alu 0xfffe
	s_and_saveexec_b32 s0, s0
	s_wait_loadcnt_dscnt 0x0
	buffer_load_b128 v[4:7], v11, s[8:11], null offen
                                        ; implicit-def: $vgpr0_vgpr1_vgpr2_vgpr3
	s_xor_b32 exec_lo, exec_lo, s0
	s_cbranch_execnz .LBB8_123
; %bb.124:                              ;   in Loop: Header=BB8_64 Depth=1
	s_mov_b32 exec_lo, s1
	flat_load_b96 v[8:10], v[66:67] offset:716
	v_add_nc_u32_e32 v1, 1, v12
	s_mov_b32 s1, exec_lo
	s_wait_loadcnt_dscnt 0x0
	v_add_nc_u32_e32 v0, 1, v10
	s_clause 0x2
	flat_store_b128 v[66:67], v[4:7]
	flat_store_b32 v[66:67], v0 offset:724
	flat_store_b32 v[66:67], v1 offset:708
	flat_load_b32 v0, v[96:97] offset:8
	s_wait_loadcnt_dscnt 0x0
	v_add_nc_u32_e32 v11, v0, v11
	s_clause 0x1
	flat_store_b32 v[66:67], v11 offset:704
	flat_store_b8 v[66:67], v135 offset:304
	flat_load_b128 v[0:3], v[86:87]
	s_wait_loadcnt_dscnt 0x0
	v_mov_b32_e32 v3, v133
	v_and_b32_e32 v1, 0xffff, v1
.LBB8_125:                              ;   Parent Loop BB8_64 Depth=1
                                        ; =>  This Inner Loop Header: Depth=2
	v_readfirstlane_b32 s8, v0
	s_delay_alu instid0(VALU_DEP_2) | instskip(SKIP_3) | instid1(VALU_DEP_3)
	v_readfirstlane_b32 s9, v1
	v_readfirstlane_b32 s10, v2
	v_readfirstlane_b32 s11, v3
	s_wait_alu 0xf1ff
	v_cmp_eq_u64_e32 vcc_lo, s[8:9], v[0:1]
	s_delay_alu instid0(VALU_DEP_2)
	v_cmp_eq_u64_e64 s0, s[10:11], v[2:3]
	s_and_b32 s0, vcc_lo, s0
	s_wait_alu 0xfffe
	s_and_saveexec_b32 s0, s0
	s_wait_loadcnt 0x0
	buffer_load_b128 v[4:7], v11, s[8:11], null offen
                                        ; implicit-def: $vgpr0_vgpr1_vgpr2_vgpr3
	s_xor_b32 exec_lo, exec_lo, s0
	s_cbranch_execnz .LBB8_125
; %bb.126:                              ;   in Loop: Header=BB8_64 Depth=1
	s_mov_b32 exec_lo, s1
	v_add_nc_u32_e32 v0, 2, v10
	v_add_nc_u32_e32 v1, 2, v12
	s_mov_b32 s1, exec_lo
	s_wait_loadcnt 0x0
	s_clause 0x2
	flat_store_b128 v[66:67], v[4:7] offset:16
	flat_store_b32 v[66:67], v0 offset:724
	flat_store_b32 v[66:67], v1 offset:708
	flat_load_b32 v0, v[96:97] offset:8
	s_wait_loadcnt_dscnt 0x0
	v_add_nc_u32_e32 v11, v0, v11
	s_clause 0x1
	flat_store_b32 v[66:67], v11 offset:704
	flat_store_b8 v[66:67], v135 offset:320
	flat_load_b128 v[0:3], v[86:87]
	s_wait_loadcnt_dscnt 0x0
	v_mov_b32_e32 v3, v133
	v_and_b32_e32 v1, 0xffff, v1
.LBB8_127:                              ;   Parent Loop BB8_64 Depth=1
                                        ; =>  This Inner Loop Header: Depth=2
	v_readfirstlane_b32 s8, v0
	s_delay_alu instid0(VALU_DEP_2) | instskip(SKIP_3) | instid1(VALU_DEP_3)
	v_readfirstlane_b32 s9, v1
	v_readfirstlane_b32 s10, v2
	v_readfirstlane_b32 s11, v3
	s_wait_alu 0xf1ff
	v_cmp_eq_u64_e32 vcc_lo, s[8:9], v[0:1]
	s_delay_alu instid0(VALU_DEP_2)
	v_cmp_eq_u64_e64 s0, s[10:11], v[2:3]
	s_and_b32 s0, vcc_lo, s0
	s_wait_alu 0xfffe
	s_and_saveexec_b32 s0, s0
	s_wait_loadcnt 0x0
	buffer_load_b128 v[4:7], v11, s[8:11], null offen
                                        ; implicit-def: $vgpr0_vgpr1_vgpr2_vgpr3
	s_xor_b32 exec_lo, exec_lo, s0
	s_cbranch_execnz .LBB8_127
; %bb.128:                              ;   in Loop: Header=BB8_64 Depth=1
	s_mov_b32 exec_lo, s1
	v_add_nc_u32_e32 v0, 3, v10
	v_add_nc_u32_e32 v1, 3, v12
	s_mov_b32 s1, exec_lo
	s_wait_loadcnt 0x0
	s_clause 0x2
	flat_store_b128 v[66:67], v[4:7] offset:32
	;; [unrolled: 39-line block ×6, first 2 shown]
	flat_store_b32 v[66:67], v0 offset:724
	flat_store_b32 v[66:67], v1 offset:708
	flat_load_b32 v0, v[96:97] offset:8
	s_wait_loadcnt_dscnt 0x0
	v_add_nc_u32_e32 v11, v0, v11
	flat_store_b32 v[66:67], v11 offset:704
	flat_load_b128 v[0:3], v[86:87]
	s_wait_loadcnt_dscnt 0x0
	v_mov_b32_e32 v3, v133
	flat_store_b8 v[66:67], v135 offset:400
	v_and_b32_e32 v1, 0xffff, v1
.LBB8_137:                              ;   Parent Loop BB8_64 Depth=1
                                        ; =>  This Inner Loop Header: Depth=2
	v_readfirstlane_b32 s8, v0
	s_delay_alu instid0(VALU_DEP_2) | instskip(SKIP_3) | instid1(VALU_DEP_3)
	v_readfirstlane_b32 s9, v1
	v_readfirstlane_b32 s10, v2
	;; [unrolled: 1-line block ×3, first 2 shown]
	s_wait_alu 0xf1ff
	v_cmp_eq_u64_e32 vcc_lo, s[8:9], v[0:1]
	s_delay_alu instid0(VALU_DEP_2)
	v_cmp_eq_u64_e64 s0, s[10:11], v[2:3]
	s_and_b32 s0, vcc_lo, s0
	s_wait_alu 0xfffe
	s_and_saveexec_b32 s0, s0
	s_wait_loadcnt 0x0
	buffer_load_b128 v[4:7], v11, s[8:11], null offen
                                        ; implicit-def: $vgpr0_vgpr1_vgpr2_vgpr3
	s_xor_b32 exec_lo, exec_lo, s0
	s_cbranch_execnz .LBB8_137
; %bb.138:                              ;   in Loop: Header=BB8_64 Depth=1
	s_mov_b32 exec_lo, s1
	s_wait_loadcnt 0x0
	flat_store_b128 v[66:67], v[4:7] offset:112
	flat_load_b96 v[0:2], v[84:85]
	s_mov_b32 s0, exec_lo
	s_wait_loadcnt_dscnt 0x0
	v_add_nc_u32_e32 v3, -7, v1
	v_add_nc_u32_e32 v4, v8, v0
	v_add_nc_u32_e32 v6, v1, v10
	;; [unrolled: 1-line block ×3, first 2 shown]
	flat_store_b96 v[66:67], v[4:6] offset:716
	v_cmpx_ne_u32_e32 0, v3
	s_cbranch_execz .LBB8_140
; %bb.139:                              ;   in Loop: Header=BB8_64 Depth=1
	v_add_nc_u32_e32 v1, v1, v12
	flat_store_b32 v[66:67], v1 offset:708
.LBB8_140:                              ;   in Loop: Header=BB8_64 Depth=1
	s_wait_alu 0xfffe
	s_or_b32 exec_lo, exec_lo, s0
	v_or_b32_e32 v4, v2, v0
	v_mov_b32_e32 v1, 0
	s_mov_b32 s0, exec_lo
	s_delay_alu instid0(VALU_DEP_2)
	v_cmpx_ne_u32_e32 0, v4
	s_cbranch_execz .LBB8_142
; %bb.141:                              ;   in Loop: Header=BB8_64 Depth=1
	flat_load_b32 v5, v[96:97] offset:24
	flat_load_b32 v6, v[66:67] offset:712
	v_mov_b32_e32 v1, v2
	s_wait_loadcnt_dscnt 0x101
	s_delay_alu instid0(VALU_DEP_1) | instskip(SKIP_1) | instid1(VALU_DEP_1)
	v_mad_co_u64_u32 v[1:2], null, v5, v0, v[1:2]
	s_wait_loadcnt_dscnt 0x0
	v_add_nc_u32_e32 v0, v1, v6
	flat_store_b32 v[66:67], v0 offset:712
.LBB8_142:                              ;   in Loop: Header=BB8_64 Depth=1
	s_wait_alu 0xfffe
	s_or_b32 exec_lo, exec_lo, s0
	v_or_b32_e32 v0, v4, v3
	s_mov_b32 s0, exec_lo
	s_delay_alu instid0(VALU_DEP_1)
	v_cmpx_ne_u32_e32 0, v0
	s_cbranch_execz .LBB8_63
; %bb.143:                              ;   in Loop: Header=BB8_64 Depth=1
	flat_load_b32 v0, v[96:97] offset:8
	s_wait_loadcnt_dscnt 0x0
	v_mul_lo_u32 v0, v0, v3
	s_delay_alu instid0(VALU_DEP_1)
	v_add3_u32 v0, v1, v11, v0
	flat_store_b32 v[66:67], v0 offset:704
	s_branch .LBB8_63
.LBB8_144:
	s_or_b32 exec_lo, exec_lo, s4
	flat_load_b64 v[11:12], v[68:69]
	s_clause 0x1
	flat_load_b128 v[4:7], v[80:81]
	flat_load_b64 v[0:1], v[80:81]
	s_mov_b32 s1, exec_lo
	s_wait_loadcnt_dscnt 0x202
	v_lshrrev_b32_e32 v2, 31, v11
	s_wait_loadcnt_dscnt 0x101
	v_lshrrev_b32_e32 v3, 31, v7
	s_wait_loadcnt_dscnt 0x0
	v_and_b32_e32 v1, 0xffff, v1
	v_add_nc_u32_e32 v2, v11, v2
	s_delay_alu instid0(VALU_DEP_3) | instskip(SKIP_2) | instid1(VALU_DEP_3)
	v_add_co_u32 v3, vcc_lo, v6, v3
	s_wait_alu 0xfffd
	v_add_co_ci_u32_e64 v6, null, 0, v7, vcc_lo
	v_ashrrev_i32_e32 v10, 1, v2
	s_delay_alu instid0(VALU_DEP_2)
	v_alignbit_b32 v2, v6, v3, 1
	v_mov_b32_e32 v3, 0x31004000
.LBB8_145:                              ; =>This Inner Loop Header: Depth=1
	v_readfirstlane_b32 s4, v0
	v_readfirstlane_b32 s5, v1
	s_delay_alu instid0(VALU_DEP_4) | instskip(NEXT) | instid1(VALU_DEP_4)
	v_readfirstlane_b32 s6, v2
	v_readfirstlane_b32 s7, v3
	s_wait_alu 0xf1ff
	s_delay_alu instid0(VALU_DEP_3) | instskip(NEXT) | instid1(VALU_DEP_2)
	v_cmp_eq_u64_e32 vcc_lo, s[4:5], v[0:1]
	v_cmp_eq_u64_e64 s0, s[6:7], v[2:3]
	s_and_b32 s0, vcc_lo, s0
	s_wait_alu 0xfffe
	s_and_saveexec_b32 s0, s0
	s_wait_loadcnt 0x0
	buffer_load_b128 v[6:9], v10, s[4:7], null offen
                                        ; implicit-def: $vgpr10
	s_xor_b32 exec_lo, exec_lo, s0
	s_cbranch_execnz .LBB8_145
; %bb.146:
	s_mov_b32 exec_lo, s1
	v_add_nc_u32_e32 v13, 1, v12
	s_mov_b32 s1, exec_lo
	s_wait_loadcnt 0x0
	scratch_store_b128 off, v[6:9], s33 offset:256
	flat_store_b32 v[68:69], v13 offset:4
	flat_load_b32 v10, v[70:71] offset:16
	s_wait_loadcnt_dscnt 0x0
	v_add_nc_u32_e32 v11, v10, v11
	s_delay_alu instid0(VALU_DEP_1) | instskip(SKIP_2) | instid1(VALU_DEP_1)
	v_lshrrev_b32_e32 v10, 31, v11
	flat_store_b32 v[68:69], v11
	v_add_nc_u32_e32 v10, v11, v10
	v_ashrrev_i32_e32 v10, 1, v10
.LBB8_147:                              ; =>This Inner Loop Header: Depth=1
	v_readfirstlane_b32 s4, v0
	v_readfirstlane_b32 s5, v1
	v_readfirstlane_b32 s6, v2
	v_readfirstlane_b32 s7, v3
	s_wait_alu 0xf1ff
	s_delay_alu instid0(VALU_DEP_3) | instskip(NEXT) | instid1(VALU_DEP_2)
	v_cmp_eq_u64_e32 vcc_lo, s[4:5], v[0:1]
	v_cmp_eq_u64_e64 s0, s[6:7], v[2:3]
	s_and_b32 s0, vcc_lo, s0
	s_wait_alu 0xfffe
	s_and_saveexec_b32 s0, s0
	s_wait_loadcnt 0x0
	buffer_load_b128 v[6:9], v10, s[4:7], null offen
                                        ; implicit-def: $vgpr10
	s_xor_b32 exec_lo, exec_lo, s0
	s_cbranch_execnz .LBB8_147
; %bb.148:
	s_mov_b32 exec_lo, s1
	v_add_nc_u32_e32 v10, 2, v12
	s_mov_b32 s1, exec_lo
	s_wait_loadcnt 0x0
	scratch_store_b128 off, v[6:9], s33 offset:320
	flat_store_b32 v[68:69], v10 offset:4
	flat_load_b32 v14, v[70:71] offset:16
	s_wait_loadcnt_dscnt 0x0
	v_add_nc_u32_e32 v11, v14, v11
	s_delay_alu instid0(VALU_DEP_1) | instskip(SKIP_2) | instid1(VALU_DEP_1)
	v_lshrrev_b32_e32 v14, 31, v11
	flat_store_b32 v[68:69], v11
	v_add_nc_u32_e32 v14, v11, v14
	v_ashrrev_i32_e32 v14, 1, v14
.LBB8_149:                              ; =>This Inner Loop Header: Depth=1
	v_readfirstlane_b32 s4, v0
	v_readfirstlane_b32 s5, v1
	;; [unrolled: 1-line block ×4, first 2 shown]
	s_wait_alu 0xf1ff
	s_delay_alu instid0(VALU_DEP_3) | instskip(NEXT) | instid1(VALU_DEP_2)
	v_cmp_eq_u64_e32 vcc_lo, s[4:5], v[0:1]
	v_cmp_eq_u64_e64 s0, s[6:7], v[2:3]
	s_and_b32 s0, vcc_lo, s0
	s_wait_alu 0xfffe
	s_and_saveexec_b32 s0, s0
	s_wait_loadcnt 0x0
	buffer_load_b128 v[6:9], v14, s[4:7], null offen
                                        ; implicit-def: $vgpr14
	s_xor_b32 exec_lo, exec_lo, s0
	s_cbranch_execnz .LBB8_149
; %bb.150:
	s_mov_b32 exec_lo, s1
	v_add_nc_u32_e32 v14, 3, v12
	s_mov_b32 s1, exec_lo
	s_wait_loadcnt 0x0
	scratch_store_b128 off, v[6:9], s33 offset:384
	flat_store_b32 v[68:69], v14 offset:4
	flat_load_b32 v14, v[70:71] offset:16
	s_wait_loadcnt_dscnt 0x0
	v_add_nc_u32_e32 v11, v14, v11
	s_delay_alu instid0(VALU_DEP_1) | instskip(SKIP_2) | instid1(VALU_DEP_1)
	v_lshrrev_b32_e32 v14, 31, v11
	flat_store_b32 v[68:69], v11
	v_add_nc_u32_e32 v14, v11, v14
	v_ashrrev_i32_e32 v14, 1, v14
.LBB8_151:                              ; =>This Inner Loop Header: Depth=1
	v_readfirstlane_b32 s4, v0
	v_readfirstlane_b32 s5, v1
	;; [unrolled: 1-line block ×4, first 2 shown]
	s_wait_alu 0xf1ff
	s_delay_alu instid0(VALU_DEP_3) | instskip(NEXT) | instid1(VALU_DEP_2)
	v_cmp_eq_u64_e32 vcc_lo, s[4:5], v[0:1]
	v_cmp_eq_u64_e64 s0, s[6:7], v[2:3]
	s_and_b32 s0, vcc_lo, s0
	s_wait_alu 0xfffe
	s_and_saveexec_b32 s0, s0
	s_wait_loadcnt 0x0
	buffer_load_b128 v[6:9], v14, s[4:7], null offen
                                        ; implicit-def: $vgpr14
	s_xor_b32 exec_lo, exec_lo, s0
	s_cbranch_execnz .LBB8_151
; %bb.152:
	s_mov_b32 exec_lo, s1
	flat_load_b32 v14, v[68:69] offset:12
	s_mov_b32 s1, exec_lo
	s_wait_loadcnt 0x1
	scratch_store_b128 off, v[6:9], s33 offset:448
	s_wait_loadcnt_dscnt 0x0
	v_add_nc_u32_e32 v15, 1, v14
	flat_store_b32 v[68:69], v15 offset:12
	flat_load_b32 v15, v[70:71] offset:24
	s_wait_loadcnt_dscnt 0x0
	v_add_nc_u32_e32 v11, v15, v11
	s_delay_alu instid0(VALU_DEP_1) | instskip(SKIP_2) | instid1(VALU_DEP_1)
	v_lshrrev_b32_e32 v15, 31, v11
	flat_store_b32 v[68:69], v11
	v_add_nc_u32_e32 v15, v11, v15
	v_ashrrev_i32_e32 v15, 1, v15
.LBB8_153:                              ; =>This Inner Loop Header: Depth=1
	v_readfirstlane_b32 s4, v0
	v_readfirstlane_b32 s5, v1
	;; [unrolled: 1-line block ×4, first 2 shown]
	s_wait_alu 0xf1ff
	s_delay_alu instid0(VALU_DEP_3) | instskip(NEXT) | instid1(VALU_DEP_2)
	v_cmp_eq_u64_e32 vcc_lo, s[4:5], v[0:1]
	v_cmp_eq_u64_e64 s0, s[6:7], v[2:3]
	s_and_b32 s0, vcc_lo, s0
	s_wait_alu 0xfffe
	s_and_saveexec_b32 s0, s0
	s_wait_loadcnt 0x0
	buffer_load_b128 v[6:9], v15, s[4:7], null offen
                                        ; implicit-def: $vgpr15
	s_xor_b32 exec_lo, exec_lo, s0
	s_cbranch_execnz .LBB8_153
; %bb.154:
	s_mov_b32 exec_lo, s1
	flat_store_b32 v[68:69], v10 offset:4
	flat_load_b32 v10, v[70:71] offset:16
	s_mov_b32 s1, exec_lo
	s_wait_loadcnt 0x1
	scratch_store_b128 off, v[6:9], s33 offset:480
	s_wait_loadcnt_dscnt 0x0
	v_sub_nc_u32_e32 v15, v11, v10
	s_delay_alu instid0(VALU_DEP_1) | instskip(SKIP_2) | instid1(VALU_DEP_1)
	v_lshrrev_b32_e32 v10, 31, v15
	flat_store_b32 v[68:69], v15
	v_add_nc_u32_e32 v10, v15, v10
	v_ashrrev_i32_e32 v16, 1, v10
.LBB8_155:                              ; =>This Inner Loop Header: Depth=1
	v_readfirstlane_b32 s4, v0
	v_readfirstlane_b32 s5, v1
	;; [unrolled: 1-line block ×4, first 2 shown]
	s_wait_alu 0xf1ff
	s_delay_alu instid0(VALU_DEP_3) | instskip(NEXT) | instid1(VALU_DEP_2)
	v_cmp_eq_u64_e32 vcc_lo, s[4:5], v[0:1]
	v_cmp_eq_u64_e64 s0, s[6:7], v[2:3]
	s_and_b32 s0, vcc_lo, s0
	s_wait_alu 0xfffe
	s_and_saveexec_b32 s0, s0
	s_wait_loadcnt 0x0
	buffer_load_b128 v[8:11], v16, s[4:7], null offen
                                        ; implicit-def: $vgpr0_vgpr1_vgpr2_vgpr3
                                        ; implicit-def: $vgpr16
	s_xor_b32 exec_lo, exec_lo, s0
	s_cbranch_execnz .LBB8_155
; %bb.156:
	s_mov_b32 exec_lo, s1
	flat_store_b32 v[68:69], v13 offset:4
	flat_load_b32 v2, v[70:71] offset:16
	flat_load_b64 v[0:1], v[80:81] offset:8
	v_and_b32_e32 v5, 0xffff, v5
	v_mov_b32_e32 v7, 0x31004000
	s_mov_b32 s1, exec_lo
	s_wait_loadcnt 0x2
	scratch_store_b128 off, v[8:11], s33 offset:416
	s_wait_loadcnt_dscnt 0x101
	v_sub_nc_u32_e32 v13, v15, v2
	s_wait_loadcnt_dscnt 0x0
	v_lshrrev_b32_e32 v2, 31, v1
	s_delay_alu instid0(VALU_DEP_2) | instskip(NEXT) | instid1(VALU_DEP_2)
	v_lshrrev_b32_e32 v3, 31, v13
	v_add_co_u32 v0, vcc_lo, v0, v2
	s_wait_alu 0xfffd
	v_add_co_ci_u32_e64 v1, null, 0, v1, vcc_lo
	s_delay_alu instid0(VALU_DEP_3)
	v_add_nc_u32_e32 v2, v13, v3
	flat_store_b32 v[68:69], v13
	v_alignbit_b32 v6, v1, v0, 1
	v_ashrrev_i32_e32 v15, 1, v2
.LBB8_157:                              ; =>This Inner Loop Header: Depth=1
	v_readfirstlane_b32 s4, v4
	v_readfirstlane_b32 s5, v5
	s_delay_alu instid0(VALU_DEP_4) | instskip(SKIP_2) | instid1(VALU_DEP_3)
	v_readfirstlane_b32 s6, v6
	v_readfirstlane_b32 s7, v7
	s_wait_alu 0xf1ff
	v_cmp_eq_u64_e32 vcc_lo, s[4:5], v[4:5]
	s_delay_alu instid0(VALU_DEP_2)
	v_cmp_eq_u64_e64 s0, s[6:7], v[6:7]
	s_and_b32 s0, vcc_lo, s0
	s_wait_alu 0xfffe
	s_and_saveexec_b32 s0, s0
	s_wait_loadcnt 0x0
	buffer_load_b128 v[0:3], v15, s[4:7], null offen
                                        ; implicit-def: $vgpr15
	s_xor_b32 exec_lo, exec_lo, s0
	s_cbranch_execnz .LBB8_157
; %bb.158:
	s_mov_b32 exec_lo, s1
	flat_store_b32 v[68:69], v12 offset:4
	flat_load_b32 v8, v[70:71] offset:16
	s_mov_b32 s1, exec_lo
	s_wait_loadcnt 0x1
	scratch_store_b128 off, v[0:3], s33 offset:352
	s_wait_loadcnt_dscnt 0x0
	v_sub_nc_u32_e32 v8, v13, v8
	s_delay_alu instid0(VALU_DEP_1) | instskip(SKIP_2) | instid1(VALU_DEP_1)
	v_lshrrev_b32_e32 v9, 31, v8
	flat_store_b32 v[68:69], v8
	v_add_nc_u32_e32 v9, v8, v9
	v_ashrrev_i32_e32 v9, 1, v9
.LBB8_159:                              ; =>This Inner Loop Header: Depth=1
	v_readfirstlane_b32 s4, v4
	v_readfirstlane_b32 s5, v5
	;; [unrolled: 1-line block ×4, first 2 shown]
	s_wait_alu 0xf1ff
	s_delay_alu instid0(VALU_DEP_3) | instskip(NEXT) | instid1(VALU_DEP_2)
	v_cmp_eq_u64_e32 vcc_lo, s[4:5], v[4:5]
	v_cmp_eq_u64_e64 s0, s[6:7], v[6:7]
	s_and_b32 s0, vcc_lo, s0
	s_wait_alu 0xfffe
	s_and_saveexec_b32 s0, s0
	s_wait_loadcnt 0x0
	buffer_load_b128 v[0:3], v9, s[4:7], null offen
                                        ; implicit-def: $vgpr4_vgpr5_vgpr6_vgpr7
                                        ; implicit-def: $vgpr9
	s_xor_b32 exec_lo, exec_lo, s0
	s_cbranch_execnz .LBB8_159
; %bb.160:
	s_mov_b32 exec_lo, s1
	flat_store_b32 v[68:69], v14 offset:12
	flat_load_b32 v4, v[70:71] offset:24
	s_clause 0x6
	scratch_load_b128 v[36:39], off, s33 offset:512
	scratch_load_b128 v[48:51], off, s33 offset:576
	;; [unrolled: 1-line block ×7, first 2 shown]
	s_wait_loadcnt 0x8
	scratch_store_b128 off, v[0:3], s33 offset:288
	s_getpc_b64 s[6:7]
	s_wait_alu 0xfffe
	s_sext_i32_i16 s7, s7
	s_add_co_u32 s6, s6, _ZNK2ck44ThreadwiseTensorSliceTransfer_StaticToStaticINS_7pk_i4_tENS_9f8_fnuz_tEKNS_16TensorDescriptorINS_5TupleIJNS_7UnMergeINS4_IJNS_17integral_constantIiLi4EEENS6_IiLi1EEENS6_IiLi2EEENS6_IiLi32EEEEEELb0EEEEEENS4_IJNS_8SequenceIJLi0EEEEEEENS4_IJNSE_IJLi1ELi2ELi3ELi4EEEEEEESH_NS6_IlLl256EEEEESL_NS_16tensor_operation12element_wise11PassThroughENSE_IJLi4ELi1ELi2ELi32EEEENSE_IJLi1ELi2ELi0ELi3EEEELi3ELi32ELb0EE3RunINS4_IJNS6_IiLi0EEEST_ST_ST_EEESU_NS_12StaticBufferILNS_16AddressSpaceEnumE4ES1_Li256ELb1EEENSV_ILSW_4ES2_Li256ELb1EEEEEvRSL_RKT_RKT1_SZ_RKT0_RT2_@rel32@lo+12
	s_wait_alu 0xfffe
	s_add_co_ci_u32 s7, s7, _ZNK2ck44ThreadwiseTensorSliceTransfer_StaticToStaticINS_7pk_i4_tENS_9f8_fnuz_tEKNS_16TensorDescriptorINS_5TupleIJNS_7UnMergeINS4_IJNS_17integral_constantIiLi4EEENS6_IiLi1EEENS6_IiLi2EEENS6_IiLi32EEEEEELb0EEEEEENS4_IJNS_8SequenceIJLi0EEEEEEENS4_IJNSE_IJLi1ELi2ELi3ELi4EEEEEEESH_NS6_IlLl256EEEEESL_NS_16tensor_operation12element_wise11PassThroughENSE_IJLi4ELi1ELi2ELi32EEEENSE_IJLi1ELi2ELi0ELi3EEEELi3ELi32ELb0EE3RunINS4_IJNS6_IiLi0EEEST_ST_ST_EEESU_NS_12StaticBufferILNS_16AddressSpaceEnumE4ES1_Li256ELb1EEENSV_ILSW_4ES2_Li256ELb1EEEEEvRSL_RKT_RKT1_SZ_RKT0_RT2_@rel32@hi+24
	s_add_co_i32 s0, s33, 0x200
	v_dual_mov_b32 v0, s33 :: v_dual_mov_b32 v1, s13
	s_wait_alu 0xfffe
	v_dual_mov_b32 v2, s0 :: v_dual_mov_b32 v3, s13
	s_wait_loadcnt_dscnt 0x700
	v_sub_nc_u32_e32 v4, v8, v4
	s_wait_loadcnt 0x6
	v_perm_b32 v37, v37, v37, 0x3020104
	v_perm_b32 v36, v36, v36, 0x3020504
	flat_store_b32 v[68:69], v4
	s_clause 0x5
	flat_load_b128 v[8:11], v[52:53] offset:16
	flat_load_b128 v[4:7], v[52:53]
	flat_load_b128 v[16:19], v[52:53] offset:48
	flat_load_b128 v[12:15], v[52:53] offset:32
	;; [unrolled: 1-line block ×4, first 2 shown]
	scratch_load_b128 v[68:71], off, s33 offset:704
	s_clause 0x1
	flat_load_b128 v[32:35], v[52:53] offset:112
	flat_load_b128 v[28:31], v[52:53] offset:96
	s_wait_loadcnt_dscnt 0x706
	v_wmma_f32_16x16x16_fp8_fp8 v[4:11], v[116:117], v[36:37], v[4:11]
	s_wait_loadcnt_dscnt 0x504
	v_wmma_f32_16x16x16_fp8_fp8 v[12:19], v[116:117], v[48:49], v[12:19]
	;; [unrolled: 2-line block ×3, first 2 shown]
	v_wmma_f32_16x16x16_fp8_fp8 v[4:11], v[118:119], v[38:39], v[4:11]
	scratch_load_b128 v[36:39], off, s33 offset:544
	s_wait_loadcnt_dscnt 0x100
	v_wmma_f32_16x16x16_fp8_fp8 v[28:35], v[116:117], v[68:69], v[28:35]
	v_wmma_f32_16x16x16_fp8_fp8 v[12:19], v[118:119], v[50:51], v[12:19]
	scratch_load_b128 v[48:51], off, s33 offset:608
	v_wmma_f32_16x16x16_fp8_fp8 v[20:27], v[118:119], v[82:83], v[20:27]
	scratch_load_b128 v[80:83], off, s33 offset:672
	;; [unrolled: 2-line block ×3, first 2 shown]
	v_wmma_f32_16x16x16_fp8_fp8 v[4:11], v[128:129], v[84:85], v[4:11]
	v_wmma_f32_16x16x16_fp8_fp8 v[12:19], v[128:129], v[132:133], v[12:19]
	;; [unrolled: 1-line block ×3, first 2 shown]
	scratch_load_b128 v[116:119], off, s33 offset:560
	v_wmma_f32_16x16x16_fp8_fp8 v[28:35], v[128:129], v[148:149], v[28:35]
	v_wmma_f32_16x16x16_fp8_fp8 v[4:11], v[130:131], v[86:87], v[4:11]
	scratch_load_b128 v[84:87], off, s33 offset:624
	v_wmma_f32_16x16x16_fp8_fp8 v[12:19], v[130:131], v[134:135], v[12:19]
	scratch_load_b128 v[132:135], off, s33 offset:688
	;; [unrolled: 2-line block ×3, first 2 shown]
	v_wmma_f32_16x16x16_fp8_fp8 v[28:35], v[130:131], v[150:151], v[28:35]
	s_wait_loadcnt 0x7
	v_wmma_f32_16x16x16_fp8_fp8 v[4:11], v[98:99], v[36:37], v[4:11]
	s_wait_loadcnt 0x6
	v_wmma_f32_16x16x16_fp8_fp8 v[12:19], v[98:99], v[48:49], v[12:19]
	s_wait_loadcnt 0x5
	v_wmma_f32_16x16x16_fp8_fp8 v[20:27], v[98:99], v[80:81], v[20:27]
	v_wmma_f32_16x16x16_fp8_fp8 v[4:11], v[100:101], v[38:39], v[4:11]
	s_wait_loadcnt 0x4
	v_wmma_f32_16x16x16_fp8_fp8 v[28:35], v[98:99], v[68:69], v[28:35]
	v_wmma_f32_16x16x16_fp8_fp8 v[12:19], v[100:101], v[50:51], v[12:19]
	;; [unrolled: 1-line block ×3, first 2 shown]
	s_wait_loadcnt 0x3
	v_wmma_f32_16x16x16_fp8_fp8 v[4:11], v[112:113], v[116:117], v[4:11]
	v_wmma_f32_16x16x16_fp8_fp8 v[28:35], v[100:101], v[70:71], v[28:35]
	s_wait_loadcnt 0x2
	v_wmma_f32_16x16x16_fp8_fp8 v[12:19], v[112:113], v[84:85], v[12:19]
	s_wait_loadcnt 0x1
	v_wmma_f32_16x16x16_fp8_fp8 v[20:27], v[112:113], v[132:133], v[20:27]
	v_wmma_f32_16x16x16_fp8_fp8 v[4:11], v[114:115], v[118:119], v[4:11]
	s_wait_loadcnt 0x0
	v_wmma_f32_16x16x16_fp8_fp8 v[28:35], v[112:113], v[144:145], v[28:35]
	v_wmma_f32_16x16x16_fp8_fp8 v[12:19], v[114:115], v[86:87], v[12:19]
	;; [unrolled: 1-line block ×3, first 2 shown]
	flat_store_b128 v[52:53], v[4:7]
	v_wmma_f32_16x16x16_fp8_fp8 v[28:35], v[114:115], v[146:147], v[28:35]
	s_clause 0x6
	flat_store_b128 v[52:53], v[8:11] offset:16
	flat_store_b128 v[52:53], v[16:19] offset:48
	flat_store_b128 v[52:53], v[12:15] offset:32
	flat_store_b128 v[52:53], v[24:27] offset:80
	flat_store_b128 v[52:53], v[20:23] offset:64
	flat_store_b128 v[52:53], v[32:35] offset:112
	flat_store_b128 v[52:53], v[28:31] offset:96
	s_clause 0x3
	flat_load_b64 v[11:12], v[64:65] offset:1148
	flat_load_b64 v[13:14], v[64:65] offset:1164
	flat_load_b128 v[4:7], v[64:65] offset:1176
	flat_load_b96 v[8:10], v[64:65] offset:1132
	flat_load_b64 v[15:16], v[54:55]
	s_wait_loadcnt_dscnt 0x303
	v_sub_nc_u32_e32 v11, v11, v14
	s_wait_loadcnt_dscnt 0x202
	v_add_nc_u32_e32 v17, 16, v7
	v_sub_nc_u32_e32 v14, v12, v13
	v_add_nc_u32_e32 v4, v13, v4
	v_add_nc_u32_e32 v13, 64, v7
	v_add3_u32 v5, v11, v5, 32
	v_add_nc_u32_e32 v7, 0x50, v7
	v_ashrrev_i32_e32 v11, 31, v17
	v_sub_nc_u32_e32 v4, v12, v4
	v_ashrrev_i32_e32 v12, 31, v13
	v_ashrrev_i32_e32 v18, 31, v5
	;; [unrolled: 1-line block ×3, first 2 shown]
	v_lshrrev_b32_e32 v11, 28, v11
	s_wait_loadcnt_dscnt 0x101
	v_sub_nc_u32_e32 v10, v5, v10
	v_lshrrev_b32_e32 v12, 28, v12
	v_lshrrev_b32_e32 v18, 29, v18
	;; [unrolled: 1-line block ×3, first 2 shown]
	v_add_nc_u32_e32 v11, v17, v11
	v_sub_nc_u32_e32 v6, v8, v6
	v_add_nc_u32_e32 v12, v13, v12
	v_add_nc_u32_e32 v18, v5, v18
	;; [unrolled: 1-line block ×3, first 2 shown]
	v_lshrrev_b32_e32 v20, 4, v11
	v_and_b32_e32 v11, -16, v11
	v_lshrrev_b32_e32 v21, 4, v12
	v_and_b32_e32 v18, -8, v18
	;; [unrolled: 2-line block ×3, first 2 shown]
	v_sub_nc_u32_e32 v11, v17, v11
	v_lshlrev_b32_e32 v10, 7, v10
	v_sub_nc_u32_e32 v5, v5, v18
	v_add_nc_u32_e32 v18, v20, v4
	v_add_nc_u32_e32 v20, v21, v4
	;; [unrolled: 1-line block ×3, first 2 shown]
	v_and_b32_e32 v19, -16, v19
	v_xor_b32_e32 v14, v5, v14
	v_xor_b32_e32 v17, v18, v5
	;; [unrolled: 1-line block ×4, first 2 shown]
	v_sub_nc_u32_e32 v5, v13, v12
	v_sub_nc_u32_e32 v12, v14, v9
	;; [unrolled: 1-line block ×5, first 2 shown]
	v_add_nc_u32_e32 v6, v6, v10
	v_lshlrev_b32_e32 v9, 4, v12
	v_lshlrev_b32_e32 v12, 4, v13
	;; [unrolled: 1-line block ×3, first 2 shown]
	v_sub_nc_u32_e32 v7, v7, v19
	v_lshlrev_b32_e32 v4, 4, v4
	v_add3_u32 v8, v10, v8, v9
	v_add3_u32 v9, v11, v6, v12
	;; [unrolled: 1-line block ×3, first 2 shown]
	s_delay_alu instid0(VALU_DEP_4) | instskip(NEXT) | instid1(VALU_DEP_4)
	v_add3_u32 v11, v7, v6, v4
	v_ashrrev_i32_e32 v5, 31, v8
	s_delay_alu instid0(VALU_DEP_4)
	v_ashrrev_i32_e32 v7, 31, v9
	s_wait_loadcnt_dscnt 0x0
	v_add_co_u32 v4, vcc_lo, v15, v8
	v_ashrrev_i32_e32 v12, 31, v10
	s_wait_alu 0xfffd
	v_add_co_ci_u32_e64 v5, null, v16, v5, vcc_lo
	v_add_co_u32 v6, vcc_lo, v15, v9
	v_ashrrev_i32_e32 v13, 31, v11
	s_wait_alu 0xfffd
	v_add_co_ci_u32_e64 v7, null, v16, v7, vcc_lo
	v_add_co_u32 v8, vcc_lo, v15, v10
	s_wait_alu 0xfffd
	v_add_co_ci_u32_e64 v9, null, v16, v12, vcc_lo
	v_add_co_u32 v10, vcc_lo, v15, v11
	s_wait_alu 0xfffd
	v_add_co_ci_u32_e64 v11, null, v16, v13, vcc_lo
	s_clause 0x3
	flat_load_b128 v[68:71], v[4:5]
	flat_load_b128 v[80:83], v[6:7]
	;; [unrolled: 1-line block ×4, first 2 shown]
	s_swappc_b64 s[30:31], s[6:7]
	; sched_group_barrier mask(0x00000008) size(4) SyncID(0)
	; sched_group_barrier mask(0x00000020) size(1) SyncID(0)
	;; [unrolled: 1-line block ×32, first 2 shown]
	; sched_barrier mask(0x00000000)
	scratch_load_b128 v[36:39], off, s33 offset:576
	s_clause 0x1
	flat_load_b128 v[4:7], v[52:53] offset:176
	flat_load_b128 v[0:3], v[52:53] offset:160
	scratch_load_b128 v[48:51], off, s33 offset:640
	s_clause 0x1
	flat_load_b128 v[12:15], v[52:53] offset:208
	flat_load_b128 v[8:11], v[52:53] offset:192
	;; [unrolled: 4-line block ×4, first 2 shown]
	s_clause 0x4
	scratch_load_b128 v[112:115], off, s33 offset:592
	scratch_load_b128 v[116:119], off, s33 offset:656
	;; [unrolled: 1-line block ×5, first 2 shown]
	s_add_co_i32 s0, s33, 0x200
	s_wait_loadcnt_dscnt 0xe06
	v_wmma_f32_16x16x16_fp8_fp8 v[0:7], v[68:69], v[36:37], v[0:7]
	s_wait_loadcnt_dscnt 0xb04
	v_wmma_f32_16x16x16_fp8_fp8 v[8:15], v[68:69], v[48:49], v[8:15]
	s_delay_alu instid0(VALU_DEP_2)
	v_wmma_f32_16x16x16_fp8_fp8 v[0:7], v[70:71], v[38:39], v[0:7]
	s_wait_loadcnt_dscnt 0x802
	v_wmma_f32_16x16x16_fp8_fp8 v[16:23], v[68:69], v[100:101], v[16:23]
	s_wait_loadcnt 0x7
	v_perm_b32 v33, v33, v33, 0x3020104
	v_perm_b32 v32, v32, v32, 0x3020504
	scratch_load_b128 v[36:39], off, s33 offset:672
	v_wmma_f32_16x16x16_fp8_fp8 v[8:15], v[70:71], v[50:51], v[8:15]
	scratch_load_b128 v[48:51], off, s33 offset:736
	v_wmma_f32_16x16x16_fp8_fp8 v[16:23], v[70:71], v[102:103], v[16:23]
	scratch_load_b128 v[100:103], off, s33 offset:544
	s_wait_loadcnt_dscnt 0x800
	v_wmma_f32_16x16x16_fp8_fp8 v[24:31], v[68:69], v[32:33], v[24:31]
	s_wait_loadcnt 0x7
	v_wmma_f32_16x16x16_fp8_fp8 v[0:7], v[80:81], v[112:113], v[0:7]
	s_wait_loadcnt 0x6
	;; [unrolled: 2-line block ×3, first 2 shown]
	v_wmma_f32_16x16x16_fp8_fp8 v[16:23], v[80:81], v[132:133], v[16:23]
	v_wmma_f32_16x16x16_fp8_fp8 v[24:31], v[70:71], v[34:35], v[24:31]
	s_clause 0x1
	scratch_load_b128 v[32:35], off, s33 offset:624
	scratch_load_b128 v[68:71], off, s33 offset:688
	v_wmma_f32_16x16x16_fp8_fp8 v[0:7], v[82:83], v[114:115], v[0:7]
	scratch_load_b128 v[112:115], off, s33 offset:752
	v_wmma_f32_16x16x16_fp8_fp8 v[8:15], v[82:83], v[118:119], v[8:15]
	;; [unrolled: 2-line block ×3, first 2 shown]
	v_wmma_f32_16x16x16_fp8_fp8 v[16:23], v[82:83], v[134:135], v[16:23]
	s_wait_loadcnt 0x7
	v_wmma_f32_16x16x16_fp8_fp8 v[0:7], v[84:85], v[144:145], v[0:7]
	s_delay_alu instid0(VALU_DEP_3) | instskip(NEXT) | instid1(VALU_DEP_2)
	v_wmma_f32_16x16x16_fp8_fp8 v[24:31], v[82:83], v[130:131], v[24:31]
	v_wmma_f32_16x16x16_fp8_fp8 v[0:7], v[86:87], v[146:147], v[0:7]
	s_wait_loadcnt 0x6
	v_wmma_f32_16x16x16_fp8_fp8 v[8:15], v[84:85], v[36:37], v[8:15]
	s_wait_loadcnt 0x5
	;; [unrolled: 2-line block ×3, first 2 shown]
	v_wmma_f32_16x16x16_fp8_fp8 v[24:31], v[84:85], v[100:101], v[24:31]
	v_wmma_f32_16x16x16_fp8_fp8 v[8:15], v[86:87], v[38:39], v[8:15]
	s_delay_alu instid0(VALU_DEP_3) | instskip(NEXT) | instid1(VALU_DEP_3)
	v_wmma_f32_16x16x16_fp8_fp8 v[16:23], v[86:87], v[50:51], v[16:23]
	v_wmma_f32_16x16x16_fp8_fp8 v[24:31], v[86:87], v[102:103], v[24:31]
	s_wait_loadcnt 0x3
	v_wmma_f32_16x16x16_fp8_fp8 v[0:7], v[96:97], v[32:33], v[0:7]
	s_wait_loadcnt 0x2
	v_wmma_f32_16x16x16_fp8_fp8 v[8:15], v[96:97], v[68:69], v[8:15]
	s_wait_loadcnt 0x1
	v_wmma_f32_16x16x16_fp8_fp8 v[16:23], v[96:97], v[112:113], v[16:23]
	s_wait_loadcnt 0x0
	v_wmma_f32_16x16x16_fp8_fp8 v[24:31], v[96:97], v[116:117], v[24:31]
	v_wmma_f32_16x16x16_fp8_fp8 v[0:7], v[98:99], v[34:35], v[0:7]
	;; [unrolled: 1-line block ×4, first 2 shown]
	s_delay_alu instid0(VALU_DEP_4)
	v_wmma_f32_16x16x16_fp8_fp8 v[24:31], v[98:99], v[118:119], v[24:31]
	s_clause 0x7
	flat_store_b128 v[52:53], v[0:3] offset:160
	flat_store_b128 v[52:53], v[4:7] offset:176
	;; [unrolled: 1-line block ×8, first 2 shown]
	s_clause 0x3
	flat_load_b64 v[7:8], v[64:65] offset:1148
	flat_load_b64 v[9:10], v[64:65] offset:1164
	flat_load_b128 v[0:3], v[64:65] offset:1176
	flat_load_b96 v[4:6], v[64:65] offset:1132
	flat_load_b64 v[11:12], v[54:55]
	s_wait_loadcnt_dscnt 0x303
	v_sub_nc_u32_e32 v7, v7, v10
	s_wait_loadcnt_dscnt 0x202
	v_add_nc_u32_e32 v13, 16, v3
	v_sub_nc_u32_e32 v10, v8, v9
	v_add_nc_u32_e32 v0, v9, v0
	v_add_nc_u32_e32 v9, 64, v3
	v_add3_u32 v1, v7, v1, 64
	v_add_nc_u32_e32 v3, 0x50, v3
	v_ashrrev_i32_e32 v7, 31, v13
	v_sub_nc_u32_e32 v0, v8, v0
	v_ashrrev_i32_e32 v8, 31, v9
	v_ashrrev_i32_e32 v14, 31, v1
	;; [unrolled: 1-line block ×3, first 2 shown]
	v_lshrrev_b32_e32 v7, 28, v7
	s_wait_loadcnt_dscnt 0x101
	v_sub_nc_u32_e32 v6, v1, v6
	v_lshrrev_b32_e32 v8, 28, v8
	v_lshrrev_b32_e32 v14, 29, v14
	;; [unrolled: 1-line block ×3, first 2 shown]
	v_add_nc_u32_e32 v7, v13, v7
	v_sub_nc_u32_e32 v2, v4, v2
	v_add_nc_u32_e32 v8, v9, v8
	v_add_nc_u32_e32 v14, v1, v14
	;; [unrolled: 1-line block ×3, first 2 shown]
	v_lshrrev_b32_e32 v16, 4, v7
	v_and_b32_e32 v7, -16, v7
	v_lshrrev_b32_e32 v17, 4, v8
	v_and_b32_e32 v14, -8, v14
	;; [unrolled: 2-line block ×3, first 2 shown]
	v_sub_nc_u32_e32 v7, v13, v7
	v_lshlrev_b32_e32 v6, 7, v6
	v_sub_nc_u32_e32 v1, v1, v14
	v_add_nc_u32_e32 v14, v16, v0
	v_add_nc_u32_e32 v16, v17, v0
	;; [unrolled: 1-line block ×3, first 2 shown]
	v_and_b32_e32 v15, -16, v15
	v_xor_b32_e32 v10, v1, v10
	v_xor_b32_e32 v13, v14, v1
	v_xor_b32_e32 v14, v16, v1
	v_xor_b32_e32 v0, v0, v1
	v_sub_nc_u32_e32 v1, v9, v8
	v_sub_nc_u32_e32 v8, v10, v5
	;; [unrolled: 1-line block ×5, first 2 shown]
	v_add_nc_u32_e32 v2, v2, v6
	v_lshlrev_b32_e32 v5, 4, v8
	v_lshlrev_b32_e32 v8, 4, v9
	;; [unrolled: 1-line block ×3, first 2 shown]
	v_sub_nc_u32_e32 v3, v3, v15
	v_lshlrev_b32_e32 v0, 4, v0
	v_add3_u32 v4, v6, v4, v5
	v_add3_u32 v5, v7, v2, v8
	;; [unrolled: 1-line block ×3, first 2 shown]
	s_delay_alu instid0(VALU_DEP_4) | instskip(NEXT) | instid1(VALU_DEP_4)
	v_add3_u32 v7, v3, v2, v0
	v_ashrrev_i32_e32 v1, 31, v4
	s_delay_alu instid0(VALU_DEP_4)
	v_ashrrev_i32_e32 v3, 31, v5
	s_wait_loadcnt_dscnt 0x0
	v_add_co_u32 v0, vcc_lo, v11, v4
	v_ashrrev_i32_e32 v8, 31, v6
	s_wait_alu 0xfffd
	v_add_co_ci_u32_e64 v1, null, v12, v1, vcc_lo
	v_add_co_u32 v2, vcc_lo, v11, v5
	v_ashrrev_i32_e32 v9, 31, v7
	s_wait_alu 0xfffd
	v_add_co_ci_u32_e64 v3, null, v12, v3, vcc_lo
	v_add_co_u32 v4, vcc_lo, v11, v6
	s_wait_alu 0xfffd
	v_add_co_ci_u32_e64 v5, null, v12, v8, vcc_lo
	v_add_co_u32 v6, vcc_lo, v11, v7
	s_wait_alu 0xfffd
	v_add_co_ci_u32_e64 v7, null, v12, v9, vcc_lo
	s_clause 0x3
	flat_load_b128 v[68:71], v[0:1]
	flat_load_b128 v[80:83], v[2:3]
	;; [unrolled: 1-line block ×4, first 2 shown]
	v_dual_mov_b32 v0, s33 :: v_dual_mov_b32 v1, s13
	s_wait_alu 0xfffe
	v_dual_mov_b32 v2, s0 :: v_dual_mov_b32 v3, s13
	s_swappc_b64 s[30:31], s[6:7]
	; sched_group_barrier mask(0x00000008) size(3) SyncID(0)
	; sched_group_barrier mask(0x00000200) size(1) SyncID(0)
	;; [unrolled: 1-line block ×24, first 2 shown]
	; sched_barrier mask(0x00000000)
	scratch_load_b128 v[36:39], off, s33 offset:576
	s_clause 0x1
	flat_load_b128 v[4:7], v[52:53] offset:304
	flat_load_b128 v[0:3], v[52:53] offset:288
	scratch_load_b128 v[48:51], off, s33 offset:640
	s_clause 0x1
	flat_load_b128 v[12:15], v[52:53] offset:336
	flat_load_b128 v[8:11], v[52:53] offset:320
	scratch_load_b128 v[100:103], off, s33 offset:704
	s_clause 0x1
	flat_load_b128 v[20:23], v[52:53] offset:368
	flat_load_b128 v[16:19], v[52:53] offset:352
	scratch_load_b128 v[32:35], off, s33 offset:512
	s_clause 0x1
	flat_load_b128 v[28:31], v[52:53] offset:272
	flat_load_b128 v[24:27], v[52:53] offset:256
	s_clause 0x4
	scratch_load_b128 v[112:115], off, s33 offset:592
	scratch_load_b128 v[116:119], off, s33 offset:656
	;; [unrolled: 1-line block ×5, first 2 shown]
	s_add_co_i32 s0, s33, 0x200
	s_wait_loadcnt_dscnt 0xe06
	v_wmma_f32_16x16x16_fp8_fp8 v[0:7], v[68:69], v[36:37], v[0:7]
	s_wait_loadcnt_dscnt 0xb04
	v_wmma_f32_16x16x16_fp8_fp8 v[8:15], v[68:69], v[48:49], v[8:15]
	s_delay_alu instid0(VALU_DEP_2)
	v_wmma_f32_16x16x16_fp8_fp8 v[0:7], v[70:71], v[38:39], v[0:7]
	s_wait_loadcnt_dscnt 0x802
	v_wmma_f32_16x16x16_fp8_fp8 v[16:23], v[68:69], v[100:101], v[16:23]
	s_wait_loadcnt 0x7
	v_perm_b32 v33, v33, v33, 0x3020104
	v_perm_b32 v32, v32, v32, 0x3020504
	scratch_load_b128 v[36:39], off, s33 offset:672
	v_wmma_f32_16x16x16_fp8_fp8 v[8:15], v[70:71], v[50:51], v[8:15]
	scratch_load_b128 v[48:51], off, s33 offset:736
	v_wmma_f32_16x16x16_fp8_fp8 v[16:23], v[70:71], v[102:103], v[16:23]
	scratch_load_b128 v[100:103], off, s33 offset:544
	s_wait_loadcnt_dscnt 0x800
	v_wmma_f32_16x16x16_fp8_fp8 v[24:31], v[68:69], v[32:33], v[24:31]
	s_wait_loadcnt 0x7
	v_wmma_f32_16x16x16_fp8_fp8 v[0:7], v[80:81], v[112:113], v[0:7]
	s_wait_loadcnt 0x6
	;; [unrolled: 2-line block ×3, first 2 shown]
	v_wmma_f32_16x16x16_fp8_fp8 v[16:23], v[80:81], v[132:133], v[16:23]
	v_wmma_f32_16x16x16_fp8_fp8 v[24:31], v[70:71], v[34:35], v[24:31]
	s_clause 0x1
	scratch_load_b128 v[32:35], off, s33 offset:624
	scratch_load_b128 v[68:71], off, s33 offset:688
	v_wmma_f32_16x16x16_fp8_fp8 v[0:7], v[82:83], v[114:115], v[0:7]
	scratch_load_b128 v[112:115], off, s33 offset:752
	v_wmma_f32_16x16x16_fp8_fp8 v[8:15], v[82:83], v[118:119], v[8:15]
	;; [unrolled: 2-line block ×3, first 2 shown]
	v_wmma_f32_16x16x16_fp8_fp8 v[16:23], v[82:83], v[134:135], v[16:23]
	s_wait_loadcnt 0x7
	v_wmma_f32_16x16x16_fp8_fp8 v[0:7], v[84:85], v[144:145], v[0:7]
	s_delay_alu instid0(VALU_DEP_3) | instskip(NEXT) | instid1(VALU_DEP_2)
	v_wmma_f32_16x16x16_fp8_fp8 v[24:31], v[82:83], v[130:131], v[24:31]
	v_wmma_f32_16x16x16_fp8_fp8 v[0:7], v[86:87], v[146:147], v[0:7]
	s_wait_loadcnt 0x6
	v_wmma_f32_16x16x16_fp8_fp8 v[8:15], v[84:85], v[36:37], v[8:15]
	s_wait_loadcnt 0x5
	;; [unrolled: 2-line block ×3, first 2 shown]
	v_wmma_f32_16x16x16_fp8_fp8 v[24:31], v[84:85], v[100:101], v[24:31]
	v_wmma_f32_16x16x16_fp8_fp8 v[8:15], v[86:87], v[38:39], v[8:15]
	s_delay_alu instid0(VALU_DEP_3) | instskip(NEXT) | instid1(VALU_DEP_3)
	v_wmma_f32_16x16x16_fp8_fp8 v[16:23], v[86:87], v[50:51], v[16:23]
	v_wmma_f32_16x16x16_fp8_fp8 v[24:31], v[86:87], v[102:103], v[24:31]
	s_wait_loadcnt 0x3
	v_wmma_f32_16x16x16_fp8_fp8 v[0:7], v[96:97], v[32:33], v[0:7]
	s_wait_loadcnt 0x2
	;; [unrolled: 2-line block ×4, first 2 shown]
	v_wmma_f32_16x16x16_fp8_fp8 v[24:31], v[96:97], v[116:117], v[24:31]
	v_wmma_f32_16x16x16_fp8_fp8 v[0:7], v[98:99], v[34:35], v[0:7]
	v_wmma_f32_16x16x16_fp8_fp8 v[8:15], v[98:99], v[70:71], v[8:15]
	v_wmma_f32_16x16x16_fp8_fp8 v[16:23], v[98:99], v[114:115], v[16:23]
	s_delay_alu instid0(VALU_DEP_4)
	v_wmma_f32_16x16x16_fp8_fp8 v[24:31], v[98:99], v[118:119], v[24:31]
	s_clause 0x7
	flat_store_b128 v[52:53], v[0:3] offset:288
	flat_store_b128 v[52:53], v[4:7] offset:304
	;; [unrolled: 1-line block ×8, first 2 shown]
	s_clause 0x3
	flat_load_b64 v[7:8], v[64:65] offset:1148
	flat_load_b64 v[9:10], v[64:65] offset:1164
	flat_load_b128 v[0:3], v[64:65] offset:1176
	flat_load_b96 v[4:6], v[64:65] offset:1132
	flat_load_b64 v[11:12], v[54:55]
	s_wait_loadcnt_dscnt 0x303
	v_sub_nc_u32_e32 v7, v7, v10
	s_wait_loadcnt_dscnt 0x202
	v_add_nc_u32_e32 v13, 16, v3
	v_sub_nc_u32_e32 v10, v8, v9
	v_add_nc_u32_e32 v0, v9, v0
	v_add_nc_u32_e32 v9, 64, v3
	v_add3_u32 v1, v7, v1, 0x60
	v_add_nc_u32_e32 v3, 0x50, v3
	v_ashrrev_i32_e32 v7, 31, v13
	v_sub_nc_u32_e32 v0, v8, v0
	v_ashrrev_i32_e32 v8, 31, v9
	v_ashrrev_i32_e32 v14, 31, v1
	;; [unrolled: 1-line block ×3, first 2 shown]
	v_lshrrev_b32_e32 v7, 28, v7
	s_wait_loadcnt_dscnt 0x101
	v_sub_nc_u32_e32 v6, v1, v6
	v_lshrrev_b32_e32 v8, 28, v8
	v_lshrrev_b32_e32 v14, 29, v14
	;; [unrolled: 1-line block ×3, first 2 shown]
	v_add_nc_u32_e32 v7, v13, v7
	v_sub_nc_u32_e32 v2, v4, v2
	v_add_nc_u32_e32 v8, v9, v8
	v_add_nc_u32_e32 v14, v1, v14
	;; [unrolled: 1-line block ×3, first 2 shown]
	v_lshrrev_b32_e32 v16, 4, v7
	v_and_b32_e32 v7, -16, v7
	v_lshrrev_b32_e32 v17, 4, v8
	v_and_b32_e32 v14, -8, v14
	;; [unrolled: 2-line block ×3, first 2 shown]
	v_sub_nc_u32_e32 v7, v13, v7
	v_lshlrev_b32_e32 v6, 7, v6
	v_sub_nc_u32_e32 v1, v1, v14
	v_add_nc_u32_e32 v14, v16, v0
	v_add_nc_u32_e32 v16, v17, v0
	;; [unrolled: 1-line block ×3, first 2 shown]
	v_and_b32_e32 v15, -16, v15
	v_xor_b32_e32 v10, v1, v10
	v_xor_b32_e32 v13, v14, v1
	;; [unrolled: 1-line block ×4, first 2 shown]
	v_sub_nc_u32_e32 v1, v9, v8
	v_sub_nc_u32_e32 v8, v10, v5
	;; [unrolled: 1-line block ×5, first 2 shown]
	v_add_nc_u32_e32 v2, v2, v6
	v_lshlrev_b32_e32 v5, 4, v8
	v_lshlrev_b32_e32 v8, 4, v9
	;; [unrolled: 1-line block ×3, first 2 shown]
	v_sub_nc_u32_e32 v3, v3, v15
	v_lshlrev_b32_e32 v0, 4, v0
	v_add3_u32 v4, v6, v4, v5
	v_add3_u32 v5, v7, v2, v8
	;; [unrolled: 1-line block ×3, first 2 shown]
	s_delay_alu instid0(VALU_DEP_4) | instskip(NEXT) | instid1(VALU_DEP_4)
	v_add3_u32 v7, v3, v2, v0
	v_ashrrev_i32_e32 v1, 31, v4
	s_delay_alu instid0(VALU_DEP_4)
	v_ashrrev_i32_e32 v3, 31, v5
	s_wait_loadcnt_dscnt 0x0
	v_add_co_u32 v0, vcc_lo, v11, v4
	v_ashrrev_i32_e32 v8, 31, v6
	s_wait_alu 0xfffd
	v_add_co_ci_u32_e64 v1, null, v12, v1, vcc_lo
	v_add_co_u32 v2, vcc_lo, v11, v5
	v_ashrrev_i32_e32 v9, 31, v7
	s_wait_alu 0xfffd
	v_add_co_ci_u32_e64 v3, null, v12, v3, vcc_lo
	v_add_co_u32 v4, vcc_lo, v11, v6
	s_wait_alu 0xfffd
	v_add_co_ci_u32_e64 v5, null, v12, v8, vcc_lo
	v_add_co_u32 v6, vcc_lo, v11, v7
	s_wait_alu 0xfffd
	v_add_co_ci_u32_e64 v7, null, v12, v9, vcc_lo
	s_clause 0x3
	flat_load_b128 v[68:71], v[0:1]
	flat_load_b128 v[80:83], v[2:3]
	;; [unrolled: 1-line block ×4, first 2 shown]
	v_dual_mov_b32 v0, s33 :: v_dual_mov_b32 v1, s13
	s_wait_alu 0xfffe
	v_dual_mov_b32 v2, s0 :: v_dual_mov_b32 v3, s13
	s_swappc_b64 s[30:31], s[6:7]
	; sched_group_barrier mask(0x00000008) size(8) SyncID(0)
	; sched_group_barrier mask(0x00000100) size(1) SyncID(0)
	;; [unrolled: 1-line block ×8, first 2 shown]
	; sched_barrier mask(0x00000000)
	scratch_load_b128 v[36:39], off, s33 offset:576
	s_clause 0x1
	flat_load_b128 v[4:7], v[52:53] offset:432
	flat_load_b128 v[0:3], v[52:53] offset:416
	scratch_load_b128 v[48:51], off, s33 offset:640
	s_clause 0x1
	flat_load_b128 v[12:15], v[52:53] offset:464
	flat_load_b128 v[8:11], v[52:53] offset:448
	;; [unrolled: 4-line block ×4, first 2 shown]
	s_clause 0x4
	scratch_load_b128 v[112:115], off, s33 offset:592
	scratch_load_b128 v[116:119], off, s33 offset:656
	scratch_load_b128 v[128:131], off, s33 offset:528
	scratch_load_b128 v[132:135], off, s33 offset:720
	scratch_load_b128 v[144:147], off, s33 offset:608
	s_add_co_i32 s0, s33, 0x200
	s_wait_loadcnt_dscnt 0xe06
	v_wmma_f32_16x16x16_fp8_fp8 v[0:7], v[68:69], v[36:37], v[0:7]
	s_wait_loadcnt_dscnt 0xb04
	v_wmma_f32_16x16x16_fp8_fp8 v[8:15], v[68:69], v[48:49], v[8:15]
	s_delay_alu instid0(VALU_DEP_2)
	v_wmma_f32_16x16x16_fp8_fp8 v[0:7], v[70:71], v[38:39], v[0:7]
	s_wait_loadcnt_dscnt 0x802
	v_wmma_f32_16x16x16_fp8_fp8 v[16:23], v[68:69], v[100:101], v[16:23]
	s_wait_loadcnt 0x7
	v_perm_b32 v33, v33, v33, 0x3020104
	v_perm_b32 v32, v32, v32, 0x3020504
	scratch_load_b128 v[36:39], off, s33 offset:672
	v_wmma_f32_16x16x16_fp8_fp8 v[8:15], v[70:71], v[50:51], v[8:15]
	scratch_load_b128 v[48:51], off, s33 offset:736
	v_wmma_f32_16x16x16_fp8_fp8 v[16:23], v[70:71], v[102:103], v[16:23]
	scratch_load_b128 v[100:103], off, s33 offset:544
	s_wait_loadcnt_dscnt 0x800
	v_wmma_f32_16x16x16_fp8_fp8 v[24:31], v[68:69], v[32:33], v[24:31]
	s_wait_loadcnt 0x7
	v_wmma_f32_16x16x16_fp8_fp8 v[0:7], v[80:81], v[112:113], v[0:7]
	s_wait_loadcnt 0x6
	;; [unrolled: 2-line block ×3, first 2 shown]
	v_wmma_f32_16x16x16_fp8_fp8 v[16:23], v[80:81], v[132:133], v[16:23]
	v_wmma_f32_16x16x16_fp8_fp8 v[24:31], v[70:71], v[34:35], v[24:31]
	s_clause 0x1
	scratch_load_b128 v[32:35], off, s33 offset:624
	scratch_load_b128 v[68:71], off, s33 offset:688
	v_wmma_f32_16x16x16_fp8_fp8 v[0:7], v[82:83], v[114:115], v[0:7]
	scratch_load_b128 v[112:115], off, s33 offset:752
	v_wmma_f32_16x16x16_fp8_fp8 v[8:15], v[82:83], v[118:119], v[8:15]
	scratch_load_b128 v[116:119], off, s33 offset:560
	v_wmma_f32_16x16x16_fp8_fp8 v[24:31], v[80:81], v[128:129], v[24:31]
	v_wmma_f32_16x16x16_fp8_fp8 v[16:23], v[82:83], v[134:135], v[16:23]
	s_wait_loadcnt 0x7
	v_wmma_f32_16x16x16_fp8_fp8 v[0:7], v[84:85], v[144:145], v[0:7]
	s_delay_alu instid0(VALU_DEP_3) | instskip(NEXT) | instid1(VALU_DEP_2)
	v_wmma_f32_16x16x16_fp8_fp8 v[24:31], v[82:83], v[130:131], v[24:31]
	v_wmma_f32_16x16x16_fp8_fp8 v[0:7], v[86:87], v[146:147], v[0:7]
	s_wait_loadcnt 0x6
	v_wmma_f32_16x16x16_fp8_fp8 v[8:15], v[84:85], v[36:37], v[8:15]
	s_wait_loadcnt 0x5
	;; [unrolled: 2-line block ×3, first 2 shown]
	v_wmma_f32_16x16x16_fp8_fp8 v[24:31], v[84:85], v[100:101], v[24:31]
	v_wmma_f32_16x16x16_fp8_fp8 v[8:15], v[86:87], v[38:39], v[8:15]
	s_delay_alu instid0(VALU_DEP_3) | instskip(NEXT) | instid1(VALU_DEP_3)
	v_wmma_f32_16x16x16_fp8_fp8 v[16:23], v[86:87], v[50:51], v[16:23]
	v_wmma_f32_16x16x16_fp8_fp8 v[24:31], v[86:87], v[102:103], v[24:31]
	s_wait_loadcnt 0x3
	v_wmma_f32_16x16x16_fp8_fp8 v[0:7], v[96:97], v[32:33], v[0:7]
	s_wait_loadcnt 0x2
	;; [unrolled: 2-line block ×4, first 2 shown]
	v_wmma_f32_16x16x16_fp8_fp8 v[24:31], v[96:97], v[116:117], v[24:31]
	v_wmma_f32_16x16x16_fp8_fp8 v[0:7], v[98:99], v[34:35], v[0:7]
	;; [unrolled: 1-line block ×4, first 2 shown]
	s_delay_alu instid0(VALU_DEP_4)
	v_wmma_f32_16x16x16_fp8_fp8 v[24:31], v[98:99], v[118:119], v[24:31]
	s_clause 0x7
	flat_store_b128 v[52:53], v[0:3] offset:416
	flat_store_b128 v[52:53], v[4:7] offset:432
	;; [unrolled: 1-line block ×8, first 2 shown]
	s_clause 0x3
	flat_load_b64 v[7:8], v[64:65] offset:1148
	flat_load_b64 v[9:10], v[64:65] offset:1164
	flat_load_b128 v[0:3], v[64:65] offset:1176
	flat_load_b96 v[4:6], v[64:65] offset:1132
	flat_load_b64 v[11:12], v[54:55]
	s_wait_loadcnt_dscnt 0x303
	v_sub_nc_u32_e32 v7, v7, v10
	s_wait_loadcnt_dscnt 0x202
	v_add_nc_u32_e32 v13, 16, v3
	v_sub_nc_u32_e32 v10, v8, v9
	v_add_nc_u32_e32 v0, v9, v0
	v_add_nc_u32_e32 v9, 64, v3
	v_add3_u32 v1, v7, v1, 0x80
	v_add_nc_u32_e32 v3, 0x50, v3
	v_ashrrev_i32_e32 v7, 31, v13
	v_sub_nc_u32_e32 v0, v8, v0
	v_ashrrev_i32_e32 v8, 31, v9
	v_ashrrev_i32_e32 v14, 31, v1
	;; [unrolled: 1-line block ×3, first 2 shown]
	v_lshrrev_b32_e32 v7, 28, v7
	s_wait_loadcnt_dscnt 0x101
	v_sub_nc_u32_e32 v6, v1, v6
	v_lshrrev_b32_e32 v8, 28, v8
	v_lshrrev_b32_e32 v14, 29, v14
	;; [unrolled: 1-line block ×3, first 2 shown]
	v_add_nc_u32_e32 v7, v13, v7
	v_sub_nc_u32_e32 v2, v4, v2
	v_add_nc_u32_e32 v8, v9, v8
	v_add_nc_u32_e32 v14, v1, v14
	;; [unrolled: 1-line block ×3, first 2 shown]
	v_lshrrev_b32_e32 v16, 4, v7
	v_and_b32_e32 v7, -16, v7
	v_lshrrev_b32_e32 v17, 4, v8
	v_and_b32_e32 v14, -8, v14
	;; [unrolled: 2-line block ×3, first 2 shown]
	v_sub_nc_u32_e32 v7, v13, v7
	v_lshlrev_b32_e32 v6, 7, v6
	v_sub_nc_u32_e32 v1, v1, v14
	v_add_nc_u32_e32 v14, v16, v0
	v_add_nc_u32_e32 v16, v17, v0
	;; [unrolled: 1-line block ×3, first 2 shown]
	v_and_b32_e32 v15, -16, v15
	v_xor_b32_e32 v10, v1, v10
	v_xor_b32_e32 v13, v14, v1
	;; [unrolled: 1-line block ×4, first 2 shown]
	v_sub_nc_u32_e32 v1, v9, v8
	v_sub_nc_u32_e32 v8, v10, v5
	;; [unrolled: 1-line block ×5, first 2 shown]
	v_add_nc_u32_e32 v2, v2, v6
	v_lshlrev_b32_e32 v5, 4, v8
	v_lshlrev_b32_e32 v8, 4, v9
	;; [unrolled: 1-line block ×3, first 2 shown]
	v_sub_nc_u32_e32 v3, v3, v15
	v_lshlrev_b32_e32 v0, 4, v0
	v_add3_u32 v4, v6, v4, v5
	v_add3_u32 v5, v7, v2, v8
	;; [unrolled: 1-line block ×3, first 2 shown]
	s_delay_alu instid0(VALU_DEP_4) | instskip(NEXT) | instid1(VALU_DEP_4)
	v_add3_u32 v7, v3, v2, v0
	v_ashrrev_i32_e32 v1, 31, v4
	s_delay_alu instid0(VALU_DEP_4)
	v_ashrrev_i32_e32 v3, 31, v5
	s_wait_loadcnt_dscnt 0x0
	v_add_co_u32 v0, vcc_lo, v11, v4
	v_ashrrev_i32_e32 v8, 31, v6
	s_wait_alu 0xfffd
	v_add_co_ci_u32_e64 v1, null, v12, v1, vcc_lo
	v_add_co_u32 v2, vcc_lo, v11, v5
	v_ashrrev_i32_e32 v9, 31, v7
	s_wait_alu 0xfffd
	v_add_co_ci_u32_e64 v3, null, v12, v3, vcc_lo
	v_add_co_u32 v4, vcc_lo, v11, v6
	s_wait_alu 0xfffd
	v_add_co_ci_u32_e64 v5, null, v12, v8, vcc_lo
	v_add_co_u32 v6, vcc_lo, v11, v7
	s_wait_alu 0xfffd
	v_add_co_ci_u32_e64 v7, null, v12, v9, vcc_lo
	s_clause 0x3
	flat_load_b128 v[68:71], v[0:1]
	flat_load_b128 v[80:83], v[2:3]
	;; [unrolled: 1-line block ×4, first 2 shown]
	v_dual_mov_b32 v0, s33 :: v_dual_mov_b32 v1, s13
	s_wait_alu 0xfffe
	v_dual_mov_b32 v2, s0 :: v_dual_mov_b32 v3, s13
	s_swappc_b64 s[30:31], s[6:7]
	; sched_group_barrier mask(0x00000008) size(8) SyncID(0)
	; sched_group_barrier mask(0x00000100) size(1) SyncID(0)
	;; [unrolled: 1-line block ×8, first 2 shown]
	; sched_barrier mask(0x00000000)
	scratch_load_b128 v[36:39], off, s33 offset:576
	s_clause 0x1
	flat_load_b128 v[4:7], v[52:53] offset:560
	flat_load_b128 v[0:3], v[52:53] offset:544
	scratch_load_b128 v[48:51], off, s33 offset:640
	s_clause 0x1
	flat_load_b128 v[12:15], v[52:53] offset:592
	flat_load_b128 v[8:11], v[52:53] offset:576
	;; [unrolled: 4-line block ×4, first 2 shown]
	s_clause 0x4
	scratch_load_b128 v[112:115], off, s33 offset:592
	scratch_load_b128 v[116:119], off, s33 offset:656
	;; [unrolled: 1-line block ×5, first 2 shown]
	s_add_co_i32 s0, s33, 0x200
	s_wait_loadcnt_dscnt 0xe06
	v_wmma_f32_16x16x16_fp8_fp8 v[0:7], v[68:69], v[36:37], v[0:7]
	s_wait_loadcnt_dscnt 0xb04
	v_wmma_f32_16x16x16_fp8_fp8 v[8:15], v[68:69], v[48:49], v[8:15]
	s_delay_alu instid0(VALU_DEP_2)
	v_wmma_f32_16x16x16_fp8_fp8 v[0:7], v[70:71], v[38:39], v[0:7]
	s_wait_loadcnt_dscnt 0x802
	v_wmma_f32_16x16x16_fp8_fp8 v[16:23], v[68:69], v[100:101], v[16:23]
	s_wait_loadcnt 0x7
	v_perm_b32 v33, v33, v33, 0x3020104
	v_perm_b32 v32, v32, v32, 0x3020504
	scratch_load_b128 v[36:39], off, s33 offset:672
	v_wmma_f32_16x16x16_fp8_fp8 v[8:15], v[70:71], v[50:51], v[8:15]
	scratch_load_b128 v[48:51], off, s33 offset:736
	v_wmma_f32_16x16x16_fp8_fp8 v[16:23], v[70:71], v[102:103], v[16:23]
	scratch_load_b128 v[100:103], off, s33 offset:544
	s_wait_loadcnt_dscnt 0x800
	v_wmma_f32_16x16x16_fp8_fp8 v[24:31], v[68:69], v[32:33], v[24:31]
	s_wait_loadcnt 0x7
	v_wmma_f32_16x16x16_fp8_fp8 v[0:7], v[80:81], v[112:113], v[0:7]
	s_wait_loadcnt 0x6
	v_wmma_f32_16x16x16_fp8_fp8 v[8:15], v[80:81], v[116:117], v[8:15]
	s_wait_loadcnt 0x4
	v_wmma_f32_16x16x16_fp8_fp8 v[16:23], v[80:81], v[132:133], v[16:23]
	v_wmma_f32_16x16x16_fp8_fp8 v[24:31], v[70:71], v[34:35], v[24:31]
	s_clause 0x1
	scratch_load_b128 v[32:35], off, s33 offset:624
	scratch_load_b128 v[68:71], off, s33 offset:688
	v_wmma_f32_16x16x16_fp8_fp8 v[0:7], v[82:83], v[114:115], v[0:7]
	scratch_load_b128 v[112:115], off, s33 offset:752
	v_wmma_f32_16x16x16_fp8_fp8 v[8:15], v[82:83], v[118:119], v[8:15]
	;; [unrolled: 2-line block ×3, first 2 shown]
	v_wmma_f32_16x16x16_fp8_fp8 v[16:23], v[82:83], v[134:135], v[16:23]
	s_wait_loadcnt 0x7
	v_wmma_f32_16x16x16_fp8_fp8 v[0:7], v[84:85], v[144:145], v[0:7]
	s_delay_alu instid0(VALU_DEP_3) | instskip(NEXT) | instid1(VALU_DEP_2)
	v_wmma_f32_16x16x16_fp8_fp8 v[24:31], v[82:83], v[130:131], v[24:31]
	v_wmma_f32_16x16x16_fp8_fp8 v[0:7], v[86:87], v[146:147], v[0:7]
	s_wait_loadcnt 0x6
	v_wmma_f32_16x16x16_fp8_fp8 v[8:15], v[84:85], v[36:37], v[8:15]
	s_wait_loadcnt 0x5
	;; [unrolled: 2-line block ×3, first 2 shown]
	v_wmma_f32_16x16x16_fp8_fp8 v[24:31], v[84:85], v[100:101], v[24:31]
	v_wmma_f32_16x16x16_fp8_fp8 v[8:15], v[86:87], v[38:39], v[8:15]
	s_delay_alu instid0(VALU_DEP_3) | instskip(NEXT) | instid1(VALU_DEP_3)
	v_wmma_f32_16x16x16_fp8_fp8 v[16:23], v[86:87], v[50:51], v[16:23]
	v_wmma_f32_16x16x16_fp8_fp8 v[24:31], v[86:87], v[102:103], v[24:31]
	s_wait_loadcnt 0x3
	v_wmma_f32_16x16x16_fp8_fp8 v[0:7], v[96:97], v[32:33], v[0:7]
	s_wait_loadcnt 0x2
	;; [unrolled: 2-line block ×4, first 2 shown]
	v_wmma_f32_16x16x16_fp8_fp8 v[24:31], v[96:97], v[116:117], v[24:31]
	v_wmma_f32_16x16x16_fp8_fp8 v[0:7], v[98:99], v[34:35], v[0:7]
	;; [unrolled: 1-line block ×4, first 2 shown]
	s_delay_alu instid0(VALU_DEP_4)
	v_wmma_f32_16x16x16_fp8_fp8 v[24:31], v[98:99], v[118:119], v[24:31]
	s_clause 0x7
	flat_store_b128 v[52:53], v[0:3] offset:544
	flat_store_b128 v[52:53], v[4:7] offset:560
	;; [unrolled: 1-line block ×8, first 2 shown]
	s_clause 0x3
	flat_load_b64 v[7:8], v[64:65] offset:1148
	flat_load_b64 v[9:10], v[64:65] offset:1164
	flat_load_b128 v[0:3], v[64:65] offset:1176
	flat_load_b96 v[4:6], v[64:65] offset:1132
	flat_load_b64 v[11:12], v[54:55]
	s_wait_loadcnt_dscnt 0x303
	v_sub_nc_u32_e32 v7, v7, v10
	s_wait_loadcnt_dscnt 0x202
	v_add_nc_u32_e32 v13, 16, v3
	v_sub_nc_u32_e32 v10, v8, v9
	v_add_nc_u32_e32 v0, v9, v0
	v_add_nc_u32_e32 v9, 64, v3
	v_add3_u32 v1, v7, v1, 0xa0
	v_add_nc_u32_e32 v3, 0x50, v3
	v_ashrrev_i32_e32 v7, 31, v13
	v_sub_nc_u32_e32 v0, v8, v0
	v_ashrrev_i32_e32 v8, 31, v9
	v_ashrrev_i32_e32 v14, 31, v1
	;; [unrolled: 1-line block ×3, first 2 shown]
	v_lshrrev_b32_e32 v7, 28, v7
	s_wait_loadcnt_dscnt 0x101
	v_sub_nc_u32_e32 v6, v1, v6
	v_lshrrev_b32_e32 v8, 28, v8
	v_lshrrev_b32_e32 v14, 29, v14
	;; [unrolled: 1-line block ×3, first 2 shown]
	v_add_nc_u32_e32 v7, v13, v7
	v_sub_nc_u32_e32 v2, v4, v2
	v_add_nc_u32_e32 v8, v9, v8
	v_add_nc_u32_e32 v14, v1, v14
	;; [unrolled: 1-line block ×3, first 2 shown]
	v_lshrrev_b32_e32 v16, 4, v7
	v_and_b32_e32 v7, -16, v7
	v_lshrrev_b32_e32 v17, 4, v8
	v_and_b32_e32 v14, -8, v14
	;; [unrolled: 2-line block ×3, first 2 shown]
	v_sub_nc_u32_e32 v7, v13, v7
	v_lshlrev_b32_e32 v6, 7, v6
	v_sub_nc_u32_e32 v1, v1, v14
	v_add_nc_u32_e32 v14, v16, v0
	v_add_nc_u32_e32 v16, v17, v0
	;; [unrolled: 1-line block ×3, first 2 shown]
	v_and_b32_e32 v15, -16, v15
	v_xor_b32_e32 v10, v1, v10
	v_xor_b32_e32 v13, v14, v1
	;; [unrolled: 1-line block ×4, first 2 shown]
	v_sub_nc_u32_e32 v1, v9, v8
	v_sub_nc_u32_e32 v8, v10, v5
	;; [unrolled: 1-line block ×5, first 2 shown]
	v_add_nc_u32_e32 v2, v2, v6
	v_lshlrev_b32_e32 v5, 4, v8
	v_lshlrev_b32_e32 v8, 4, v9
	;; [unrolled: 1-line block ×3, first 2 shown]
	v_sub_nc_u32_e32 v3, v3, v15
	v_lshlrev_b32_e32 v0, 4, v0
	v_add3_u32 v4, v6, v4, v5
	v_add3_u32 v5, v7, v2, v8
	;; [unrolled: 1-line block ×3, first 2 shown]
	s_delay_alu instid0(VALU_DEP_4) | instskip(NEXT) | instid1(VALU_DEP_4)
	v_add3_u32 v7, v3, v2, v0
	v_ashrrev_i32_e32 v1, 31, v4
	s_delay_alu instid0(VALU_DEP_4)
	v_ashrrev_i32_e32 v3, 31, v5
	s_wait_loadcnt_dscnt 0x0
	v_add_co_u32 v0, vcc_lo, v11, v4
	v_ashrrev_i32_e32 v8, 31, v6
	s_wait_alu 0xfffd
	v_add_co_ci_u32_e64 v1, null, v12, v1, vcc_lo
	v_add_co_u32 v2, vcc_lo, v11, v5
	v_ashrrev_i32_e32 v9, 31, v7
	s_wait_alu 0xfffd
	v_add_co_ci_u32_e64 v3, null, v12, v3, vcc_lo
	v_add_co_u32 v4, vcc_lo, v11, v6
	s_wait_alu 0xfffd
	v_add_co_ci_u32_e64 v5, null, v12, v8, vcc_lo
	v_add_co_u32 v6, vcc_lo, v11, v7
	s_wait_alu 0xfffd
	v_add_co_ci_u32_e64 v7, null, v12, v9, vcc_lo
	s_clause 0x3
	flat_load_b128 v[68:71], v[0:1]
	flat_load_b128 v[80:83], v[2:3]
	;; [unrolled: 1-line block ×4, first 2 shown]
	v_dual_mov_b32 v0, s33 :: v_dual_mov_b32 v1, s13
	s_wait_alu 0xfffe
	v_dual_mov_b32 v2, s0 :: v_dual_mov_b32 v3, s13
	s_swappc_b64 s[30:31], s[6:7]
	; sched_group_barrier mask(0x00000008) size(8) SyncID(0)
	; sched_group_barrier mask(0x00000100) size(1) SyncID(0)
	; sched_group_barrier mask(0x00000008) size(8) SyncID(0)
	; sched_group_barrier mask(0x00000100) size(1) SyncID(0)
	; sched_group_barrier mask(0x00000008) size(8) SyncID(0)
	; sched_group_barrier mask(0x00000100) size(1) SyncID(0)
	; sched_group_barrier mask(0x00000008) size(8) SyncID(0)
	; sched_group_barrier mask(0x00000100) size(1) SyncID(0)
	; sched_barrier mask(0x00000000)
	scratch_load_b128 v[36:39], off, s33 offset:576
	s_clause 0x1
	flat_load_b128 v[4:7], v[52:53] offset:688
	flat_load_b128 v[0:3], v[52:53] offset:672
	scratch_load_b128 v[48:51], off, s33 offset:640
	s_clause 0x1
	flat_load_b128 v[12:15], v[52:53] offset:720
	flat_load_b128 v[8:11], v[52:53] offset:704
	;; [unrolled: 4-line block ×4, first 2 shown]
	s_clause 0x4
	scratch_load_b128 v[112:115], off, s33 offset:592
	scratch_load_b128 v[116:119], off, s33 offset:656
	scratch_load_b128 v[128:131], off, s33 offset:528
	scratch_load_b128 v[132:135], off, s33 offset:720
	scratch_load_b128 v[144:147], off, s33 offset:608
	s_add_co_i32 s0, s33, 0x200
	s_wait_loadcnt_dscnt 0xe06
	v_wmma_f32_16x16x16_fp8_fp8 v[0:7], v[68:69], v[36:37], v[0:7]
	s_wait_loadcnt_dscnt 0xb04
	v_wmma_f32_16x16x16_fp8_fp8 v[8:15], v[68:69], v[48:49], v[8:15]
	s_delay_alu instid0(VALU_DEP_2)
	v_wmma_f32_16x16x16_fp8_fp8 v[0:7], v[70:71], v[38:39], v[0:7]
	s_wait_loadcnt_dscnt 0x802
	v_wmma_f32_16x16x16_fp8_fp8 v[16:23], v[68:69], v[100:101], v[16:23]
	s_wait_loadcnt 0x7
	v_perm_b32 v33, v33, v33, 0x3020104
	v_perm_b32 v32, v32, v32, 0x3020504
	scratch_load_b128 v[36:39], off, s33 offset:672
	v_wmma_f32_16x16x16_fp8_fp8 v[8:15], v[70:71], v[50:51], v[8:15]
	scratch_load_b128 v[48:51], off, s33 offset:736
	v_wmma_f32_16x16x16_fp8_fp8 v[16:23], v[70:71], v[102:103], v[16:23]
	scratch_load_b128 v[100:103], off, s33 offset:544
	s_wait_loadcnt_dscnt 0x800
	v_wmma_f32_16x16x16_fp8_fp8 v[24:31], v[68:69], v[32:33], v[24:31]
	s_wait_loadcnt 0x7
	v_wmma_f32_16x16x16_fp8_fp8 v[0:7], v[80:81], v[112:113], v[0:7]
	s_wait_loadcnt 0x6
	;; [unrolled: 2-line block ×3, first 2 shown]
	v_wmma_f32_16x16x16_fp8_fp8 v[16:23], v[80:81], v[132:133], v[16:23]
	v_wmma_f32_16x16x16_fp8_fp8 v[24:31], v[70:71], v[34:35], v[24:31]
	s_clause 0x1
	scratch_load_b128 v[32:35], off, s33 offset:624
	scratch_load_b128 v[68:71], off, s33 offset:688
	v_wmma_f32_16x16x16_fp8_fp8 v[0:7], v[82:83], v[114:115], v[0:7]
	scratch_load_b128 v[112:115], off, s33 offset:752
	v_wmma_f32_16x16x16_fp8_fp8 v[8:15], v[82:83], v[118:119], v[8:15]
	;; [unrolled: 2-line block ×3, first 2 shown]
	v_wmma_f32_16x16x16_fp8_fp8 v[16:23], v[82:83], v[134:135], v[16:23]
	s_wait_loadcnt 0x7
	v_wmma_f32_16x16x16_fp8_fp8 v[0:7], v[84:85], v[144:145], v[0:7]
	s_delay_alu instid0(VALU_DEP_3) | instskip(NEXT) | instid1(VALU_DEP_2)
	v_wmma_f32_16x16x16_fp8_fp8 v[24:31], v[82:83], v[130:131], v[24:31]
	v_wmma_f32_16x16x16_fp8_fp8 v[0:7], v[86:87], v[146:147], v[0:7]
	s_wait_loadcnt 0x6
	v_wmma_f32_16x16x16_fp8_fp8 v[8:15], v[84:85], v[36:37], v[8:15]
	s_wait_loadcnt 0x5
	;; [unrolled: 2-line block ×3, first 2 shown]
	v_wmma_f32_16x16x16_fp8_fp8 v[24:31], v[84:85], v[100:101], v[24:31]
	v_wmma_f32_16x16x16_fp8_fp8 v[8:15], v[86:87], v[38:39], v[8:15]
	s_delay_alu instid0(VALU_DEP_3) | instskip(NEXT) | instid1(VALU_DEP_3)
	v_wmma_f32_16x16x16_fp8_fp8 v[16:23], v[86:87], v[50:51], v[16:23]
	v_wmma_f32_16x16x16_fp8_fp8 v[24:31], v[86:87], v[102:103], v[24:31]
	s_wait_loadcnt 0x3
	v_wmma_f32_16x16x16_fp8_fp8 v[0:7], v[96:97], v[32:33], v[0:7]
	s_wait_loadcnt 0x2
	;; [unrolled: 2-line block ×4, first 2 shown]
	v_wmma_f32_16x16x16_fp8_fp8 v[24:31], v[96:97], v[116:117], v[24:31]
	v_wmma_f32_16x16x16_fp8_fp8 v[0:7], v[98:99], v[34:35], v[0:7]
	;; [unrolled: 1-line block ×4, first 2 shown]
	s_delay_alu instid0(VALU_DEP_4)
	v_wmma_f32_16x16x16_fp8_fp8 v[24:31], v[98:99], v[118:119], v[24:31]
	s_clause 0x7
	flat_store_b128 v[52:53], v[0:3] offset:672
	flat_store_b128 v[52:53], v[4:7] offset:688
	;; [unrolled: 1-line block ×8, first 2 shown]
	s_clause 0x3
	flat_load_b64 v[7:8], v[64:65] offset:1148
	flat_load_b64 v[9:10], v[64:65] offset:1164
	flat_load_b128 v[0:3], v[64:65] offset:1176
	flat_load_b96 v[4:6], v[64:65] offset:1132
	flat_load_b64 v[11:12], v[54:55]
	s_wait_loadcnt_dscnt 0x303
	v_sub_nc_u32_e32 v7, v7, v10
	s_wait_loadcnt_dscnt 0x202
	v_add_nc_u32_e32 v13, 16, v3
	v_sub_nc_u32_e32 v10, v8, v9
	v_add_nc_u32_e32 v0, v9, v0
	v_add_nc_u32_e32 v9, 64, v3
	v_add3_u32 v1, v7, v1, 0xc0
	v_add_nc_u32_e32 v3, 0x50, v3
	v_ashrrev_i32_e32 v7, 31, v13
	v_sub_nc_u32_e32 v0, v8, v0
	v_ashrrev_i32_e32 v8, 31, v9
	v_ashrrev_i32_e32 v14, 31, v1
	;; [unrolled: 1-line block ×3, first 2 shown]
	v_lshrrev_b32_e32 v7, 28, v7
	s_wait_loadcnt_dscnt 0x101
	v_sub_nc_u32_e32 v6, v1, v6
	v_lshrrev_b32_e32 v8, 28, v8
	v_lshrrev_b32_e32 v14, 29, v14
	;; [unrolled: 1-line block ×3, first 2 shown]
	v_add_nc_u32_e32 v7, v13, v7
	v_sub_nc_u32_e32 v2, v4, v2
	v_add_nc_u32_e32 v8, v9, v8
	v_add_nc_u32_e32 v14, v1, v14
	;; [unrolled: 1-line block ×3, first 2 shown]
	v_lshrrev_b32_e32 v16, 4, v7
	v_and_b32_e32 v7, -16, v7
	v_lshrrev_b32_e32 v17, 4, v8
	v_and_b32_e32 v14, -8, v14
	;; [unrolled: 2-line block ×3, first 2 shown]
	v_sub_nc_u32_e32 v7, v13, v7
	v_lshlrev_b32_e32 v6, 7, v6
	v_sub_nc_u32_e32 v1, v1, v14
	v_add_nc_u32_e32 v14, v16, v0
	v_add_nc_u32_e32 v16, v17, v0
	;; [unrolled: 1-line block ×3, first 2 shown]
	v_and_b32_e32 v15, -16, v15
	v_xor_b32_e32 v10, v1, v10
	v_xor_b32_e32 v13, v14, v1
	v_xor_b32_e32 v14, v16, v1
	v_xor_b32_e32 v0, v0, v1
	v_sub_nc_u32_e32 v1, v9, v8
	v_sub_nc_u32_e32 v8, v10, v5
	;; [unrolled: 1-line block ×5, first 2 shown]
	v_add_nc_u32_e32 v2, v2, v6
	v_lshlrev_b32_e32 v5, 4, v8
	v_lshlrev_b32_e32 v8, 4, v9
	;; [unrolled: 1-line block ×3, first 2 shown]
	v_sub_nc_u32_e32 v3, v3, v15
	v_lshlrev_b32_e32 v0, 4, v0
	v_add3_u32 v4, v6, v4, v5
	v_add3_u32 v5, v7, v2, v8
	;; [unrolled: 1-line block ×3, first 2 shown]
	s_delay_alu instid0(VALU_DEP_4) | instskip(NEXT) | instid1(VALU_DEP_4)
	v_add3_u32 v7, v3, v2, v0
	v_ashrrev_i32_e32 v1, 31, v4
	s_delay_alu instid0(VALU_DEP_4)
	v_ashrrev_i32_e32 v3, 31, v5
	s_wait_loadcnt_dscnt 0x0
	v_add_co_u32 v0, vcc_lo, v11, v4
	v_ashrrev_i32_e32 v8, 31, v6
	s_wait_alu 0xfffd
	v_add_co_ci_u32_e64 v1, null, v12, v1, vcc_lo
	v_add_co_u32 v2, vcc_lo, v11, v5
	v_ashrrev_i32_e32 v9, 31, v7
	s_wait_alu 0xfffd
	v_add_co_ci_u32_e64 v3, null, v12, v3, vcc_lo
	v_add_co_u32 v4, vcc_lo, v11, v6
	s_wait_alu 0xfffd
	v_add_co_ci_u32_e64 v5, null, v12, v8, vcc_lo
	v_add_co_u32 v6, vcc_lo, v11, v7
	s_wait_alu 0xfffd
	v_add_co_ci_u32_e64 v7, null, v12, v9, vcc_lo
	s_clause 0x3
	flat_load_b128 v[68:71], v[0:1]
	flat_load_b128 v[80:83], v[2:3]
	flat_load_b128 v[84:87], v[4:5]
	flat_load_b128 v[96:99], v[6:7]
	v_dual_mov_b32 v0, s33 :: v_dual_mov_b32 v1, s13
	s_wait_alu 0xfffe
	v_dual_mov_b32 v2, s0 :: v_dual_mov_b32 v3, s13
	s_swappc_b64 s[30:31], s[6:7]
	; sched_group_barrier mask(0x00000008) size(8) SyncID(0)
	; sched_group_barrier mask(0x00000100) size(1) SyncID(0)
	;; [unrolled: 1-line block ×8, first 2 shown]
	; sched_barrier mask(0x00000000)
	scratch_load_b128 v[36:39], off, s33 offset:576
	s_clause 0x1
	flat_load_b128 v[4:7], v[52:53] offset:816
	flat_load_b128 v[0:3], v[52:53] offset:800
	scratch_load_b128 v[48:51], off, s33 offset:640
	s_clause 0x1
	flat_load_b128 v[12:15], v[52:53] offset:848
	flat_load_b128 v[8:11], v[52:53] offset:832
	;; [unrolled: 4-line block ×4, first 2 shown]
	s_clause 0x4
	scratch_load_b128 v[112:115], off, s33 offset:592
	scratch_load_b128 v[116:119], off, s33 offset:656
	;; [unrolled: 1-line block ×5, first 2 shown]
	s_add_co_i32 s0, s33, 0x200
	s_wait_loadcnt_dscnt 0xe06
	v_wmma_f32_16x16x16_fp8_fp8 v[0:7], v[68:69], v[36:37], v[0:7]
	s_wait_loadcnt_dscnt 0xb04
	v_wmma_f32_16x16x16_fp8_fp8 v[8:15], v[68:69], v[48:49], v[8:15]
	s_delay_alu instid0(VALU_DEP_2)
	v_wmma_f32_16x16x16_fp8_fp8 v[0:7], v[70:71], v[38:39], v[0:7]
	s_wait_loadcnt_dscnt 0x802
	v_wmma_f32_16x16x16_fp8_fp8 v[16:23], v[68:69], v[100:101], v[16:23]
	s_wait_loadcnt 0x7
	v_perm_b32 v33, v33, v33, 0x3020104
	v_perm_b32 v32, v32, v32, 0x3020504
	scratch_load_b128 v[36:39], off, s33 offset:672
	v_wmma_f32_16x16x16_fp8_fp8 v[8:15], v[70:71], v[50:51], v[8:15]
	scratch_load_b128 v[48:51], off, s33 offset:736
	v_wmma_f32_16x16x16_fp8_fp8 v[16:23], v[70:71], v[102:103], v[16:23]
	scratch_load_b128 v[100:103], off, s33 offset:544
	s_wait_loadcnt_dscnt 0x800
	v_wmma_f32_16x16x16_fp8_fp8 v[24:31], v[68:69], v[32:33], v[24:31]
	s_wait_loadcnt 0x7
	v_wmma_f32_16x16x16_fp8_fp8 v[0:7], v[80:81], v[112:113], v[0:7]
	s_wait_loadcnt 0x6
	v_wmma_f32_16x16x16_fp8_fp8 v[8:15], v[80:81], v[116:117], v[8:15]
	s_wait_loadcnt 0x4
	v_wmma_f32_16x16x16_fp8_fp8 v[16:23], v[80:81], v[132:133], v[16:23]
	v_wmma_f32_16x16x16_fp8_fp8 v[24:31], v[70:71], v[34:35], v[24:31]
	s_clause 0x1
	scratch_load_b128 v[32:35], off, s33 offset:624
	scratch_load_b128 v[68:71], off, s33 offset:688
	v_wmma_f32_16x16x16_fp8_fp8 v[0:7], v[82:83], v[114:115], v[0:7]
	scratch_load_b128 v[112:115], off, s33 offset:752
	v_wmma_f32_16x16x16_fp8_fp8 v[8:15], v[82:83], v[118:119], v[8:15]
	;; [unrolled: 2-line block ×3, first 2 shown]
	v_wmma_f32_16x16x16_fp8_fp8 v[16:23], v[82:83], v[134:135], v[16:23]
	s_wait_loadcnt 0x7
	v_wmma_f32_16x16x16_fp8_fp8 v[0:7], v[84:85], v[144:145], v[0:7]
	s_delay_alu instid0(VALU_DEP_3) | instskip(NEXT) | instid1(VALU_DEP_2)
	v_wmma_f32_16x16x16_fp8_fp8 v[24:31], v[82:83], v[130:131], v[24:31]
	v_wmma_f32_16x16x16_fp8_fp8 v[0:7], v[86:87], v[146:147], v[0:7]
	s_wait_loadcnt 0x6
	v_wmma_f32_16x16x16_fp8_fp8 v[8:15], v[84:85], v[36:37], v[8:15]
	s_wait_loadcnt 0x5
	;; [unrolled: 2-line block ×3, first 2 shown]
	v_wmma_f32_16x16x16_fp8_fp8 v[24:31], v[84:85], v[100:101], v[24:31]
	v_wmma_f32_16x16x16_fp8_fp8 v[8:15], v[86:87], v[38:39], v[8:15]
	s_delay_alu instid0(VALU_DEP_3) | instskip(NEXT) | instid1(VALU_DEP_3)
	v_wmma_f32_16x16x16_fp8_fp8 v[16:23], v[86:87], v[50:51], v[16:23]
	v_wmma_f32_16x16x16_fp8_fp8 v[24:31], v[86:87], v[102:103], v[24:31]
	s_wait_loadcnt 0x3
	v_wmma_f32_16x16x16_fp8_fp8 v[0:7], v[96:97], v[32:33], v[0:7]
	s_wait_loadcnt 0x2
	;; [unrolled: 2-line block ×4, first 2 shown]
	v_wmma_f32_16x16x16_fp8_fp8 v[24:31], v[96:97], v[116:117], v[24:31]
	v_wmma_f32_16x16x16_fp8_fp8 v[0:7], v[98:99], v[34:35], v[0:7]
	;; [unrolled: 1-line block ×4, first 2 shown]
	s_delay_alu instid0(VALU_DEP_4)
	v_wmma_f32_16x16x16_fp8_fp8 v[24:31], v[98:99], v[118:119], v[24:31]
	s_clause 0x7
	flat_store_b128 v[52:53], v[0:3] offset:800
	flat_store_b128 v[52:53], v[4:7] offset:816
	;; [unrolled: 1-line block ×8, first 2 shown]
	s_clause 0x3
	flat_load_b64 v[7:8], v[64:65] offset:1148
	flat_load_b64 v[9:10], v[64:65] offset:1164
	flat_load_b128 v[0:3], v[64:65] offset:1176
	flat_load_b96 v[4:6], v[64:65] offset:1132
	flat_load_b64 v[11:12], v[54:55]
	s_wait_loadcnt_dscnt 0x303
	v_sub_nc_u32_e32 v7, v7, v10
	s_wait_loadcnt_dscnt 0x202
	v_add_nc_u32_e32 v13, 16, v3
	v_sub_nc_u32_e32 v10, v8, v9
	v_add_nc_u32_e32 v0, v9, v0
	v_add_nc_u32_e32 v9, 64, v3
	v_add3_u32 v1, v7, v1, 0xe0
	v_add_nc_u32_e32 v3, 0x50, v3
	v_ashrrev_i32_e32 v7, 31, v13
	v_sub_nc_u32_e32 v0, v8, v0
	v_ashrrev_i32_e32 v8, 31, v9
	v_ashrrev_i32_e32 v14, 31, v1
	;; [unrolled: 1-line block ×3, first 2 shown]
	v_lshrrev_b32_e32 v7, 28, v7
	s_wait_loadcnt_dscnt 0x101
	v_sub_nc_u32_e32 v6, v1, v6
	v_lshrrev_b32_e32 v8, 28, v8
	v_lshrrev_b32_e32 v14, 29, v14
	;; [unrolled: 1-line block ×3, first 2 shown]
	v_add_nc_u32_e32 v7, v13, v7
	v_sub_nc_u32_e32 v2, v4, v2
	v_add_nc_u32_e32 v8, v9, v8
	v_add_nc_u32_e32 v14, v1, v14
	;; [unrolled: 1-line block ×3, first 2 shown]
	v_lshrrev_b32_e32 v16, 4, v7
	v_and_b32_e32 v7, -16, v7
	v_lshrrev_b32_e32 v17, 4, v8
	v_and_b32_e32 v14, -8, v14
	v_lshrrev_b32_e32 v18, 4, v15
	v_and_b32_e32 v8, -16, v8
	v_sub_nc_u32_e32 v7, v13, v7
	v_lshlrev_b32_e32 v6, 7, v6
	v_sub_nc_u32_e32 v1, v1, v14
	v_add_nc_u32_e32 v14, v16, v0
	v_add_nc_u32_e32 v16, v17, v0
	;; [unrolled: 1-line block ×3, first 2 shown]
	v_and_b32_e32 v15, -16, v15
	v_xor_b32_e32 v10, v1, v10
	v_xor_b32_e32 v13, v14, v1
	;; [unrolled: 1-line block ×4, first 2 shown]
	v_sub_nc_u32_e32 v1, v9, v8
	v_sub_nc_u32_e32 v8, v10, v5
	v_sub_nc_u32_e32 v9, v13, v5
	v_sub_nc_u32_e32 v10, v14, v5
	v_sub_nc_u32_e32 v0, v0, v5
	v_add_nc_u32_e32 v2, v2, v6
	v_lshlrev_b32_e32 v5, 4, v8
	v_lshlrev_b32_e32 v8, 4, v9
	;; [unrolled: 1-line block ×3, first 2 shown]
	v_sub_nc_u32_e32 v3, v3, v15
	v_lshlrev_b32_e32 v0, 4, v0
	v_add3_u32 v4, v6, v4, v5
	v_add3_u32 v5, v7, v2, v8
	;; [unrolled: 1-line block ×3, first 2 shown]
	s_delay_alu instid0(VALU_DEP_4) | instskip(NEXT) | instid1(VALU_DEP_4)
	v_add3_u32 v7, v3, v2, v0
	v_ashrrev_i32_e32 v1, 31, v4
	s_delay_alu instid0(VALU_DEP_4)
	v_ashrrev_i32_e32 v3, 31, v5
	s_wait_loadcnt_dscnt 0x0
	v_add_co_u32 v0, vcc_lo, v11, v4
	v_ashrrev_i32_e32 v8, 31, v6
	s_wait_alu 0xfffd
	v_add_co_ci_u32_e64 v1, null, v12, v1, vcc_lo
	v_add_co_u32 v2, vcc_lo, v11, v5
	v_ashrrev_i32_e32 v9, 31, v7
	s_wait_alu 0xfffd
	v_add_co_ci_u32_e64 v3, null, v12, v3, vcc_lo
	v_add_co_u32 v4, vcc_lo, v11, v6
	s_wait_alu 0xfffd
	v_add_co_ci_u32_e64 v5, null, v12, v8, vcc_lo
	v_add_co_u32 v6, vcc_lo, v11, v7
	s_wait_alu 0xfffd
	v_add_co_ci_u32_e64 v7, null, v12, v9, vcc_lo
	s_clause 0x3
	flat_load_b128 v[96:99], v[0:1]
	flat_load_b128 v[84:87], v[2:3]
	flat_load_b128 v[80:83], v[4:5]
	flat_load_b128 v[68:71], v[6:7]
	v_dual_mov_b32 v0, s33 :: v_dual_mov_b32 v1, s13
	s_wait_alu 0xfffe
	v_dual_mov_b32 v2, s0 :: v_dual_mov_b32 v3, s13
	s_swappc_b64 s[30:31], s[6:7]
	; sched_group_barrier mask(0x00000008) size(8) SyncID(0)
	; sched_group_barrier mask(0x00000100) size(1) SyncID(0)
	;; [unrolled: 1-line block ×8, first 2 shown]
	; sched_barrier mask(0x00000000)
	s_clause 0x10
	flat_load_u8 v37, v[66:67] offset:384
	flat_load_u8 v38, v[66:67] offset:400
	;; [unrolled: 1-line block ×7, first 2 shown]
	flat_load_b128 v[20:23], v[66:67] offset:96
	flat_load_b128 v[24:27], v[66:67] offset:112
	;; [unrolled: 1-line block ×7, first 2 shown]
	flat_load_u8 v39, v[66:67] offset:288
	flat_load_b128 v[28:31], v[66:67]
	flat_load_b32 v116, v[66:67] offset:728
	s_wait_loadcnt_dscnt 0x1010
	v_and_b32_e32 v37, 1, v37
	s_wait_loadcnt_dscnt 0xf0f
	v_and_b32_e32 v38, 1, v38
	;; [unrolled: 2-line block ×7, first 2 shown]
	v_cmp_eq_u32_e64 s4, 1, v37
	v_cmp_eq_u32_e64 s5, 1, v38
	v_cmp_eq_u32_e32 vcc_lo, 1, v32
	v_cmp_eq_u32_e64 s0, 1, v33
	v_cmp_eq_u32_e64 s1, 1, v34
	v_cmp_eq_u32_e64 s2, 1, v35
	v_cmp_eq_u32_e64 s3, 1, v36
	s_wait_loadcnt_dscnt 0x909
	s_wait_alu 0xf1ff
	v_cndmask_b32_e64 v21, 0, v21, s4
	s_wait_loadcnt_dscnt 0x808
	v_cndmask_b32_e64 v27, 0, v27, s5
	v_cndmask_b32_e64 v20, 0, v20, s4
	;; [unrolled: 1-line block ×7, first 2 shown]
	s_wait_loadcnt_dscnt 0x707
	s_wait_alu 0xfffd
	v_cndmask_b32_e32 v3, 0, v3, vcc_lo
	s_wait_loadcnt_dscnt 0x606
	v_cndmask_b32_e64 v7, 0, v7, s0
	s_wait_loadcnt_dscnt 0x505
	v_cndmask_b32_e64 v11, 0, v11, s1
	;; [unrolled: 2-line block ×4, first 2 shown]
	v_dual_cndmask_b32 v2, 0, v2 :: v_dual_cndmask_b32 v1, 0, v1
	v_cndmask_b32_e32 v0, 0, v0, vcc_lo
	v_cndmask_b32_e64 v6, 0, v6, s0
	v_cndmask_b32_e64 v5, 0, v5, s0
	;; [unrolled: 1-line block ×9, first 2 shown]
	s_clause 0x1
	flat_store_b128 v[66:67], v[20:23] offset:96
	flat_store_b128 v[66:67], v[24:27] offset:112
	v_cndmask_b32_e64 v18, 0, v18, s3
	v_cndmask_b32_e64 v17, 0, v17, s3
	;; [unrolled: 1-line block ×3, first 2 shown]
	flat_load_b128 v[23:26], v[66:67] offset:107
	s_clause 0x4
	flat_store_b128 v[66:67], v[4:7] offset:32
	flat_store_b128 v[66:67], v[8:11] offset:48
	;; [unrolled: 1-line block ×5, first 2 shown]
	s_clause 0x6
	flat_load_u8 v117, v[66:67] offset:127
	flat_load_b32 v27, v[66:67] offset:123
	flat_load_b32 v32, v[66:67] offset:31
	;; [unrolled: 1-line block ×6, first 2 shown]
	s_wait_loadcnt_dscnt 0xa11
	v_and_b32_e32 v33, 1, v39
	v_alignbit_b32 v3, v3, v2, 24
	v_perm_b32 v34, v5, v6, 0x2010007
	v_alignbit_b32 v35, v7, v6, 24
	v_alignbit_b32 v37, v9, v8, 24
	v_cmp_eq_u32_e32 vcc_lo, 1, v33
	v_alignbit_b32 v33, v5, v4, 24
	v_lshrrev_b32_e32 v4, 16, v3
	v_lshrrev_b32_e32 v5, 8, v3
	v_perm_b32 v38, v9, v10, 0x2010007
	s_wait_loadcnt_dscnt 0x910
	s_wait_alu 0xfffd
	v_dual_cndmask_b32 v31, 0, v31 :: v_dual_cndmask_b32 v30, 0, v30
	v_lshlrev_b16 v4, 8, v4
	v_and_b32_e32 v5, 0xff, v5
	v_dual_cndmask_b32 v29, 0, v29 :: v_dual_cndmask_b32 v28, 0, v28
	v_alignbit_b32 v39, v11, v10, 24
	v_alignbit_b32 v49, v13, v12, 24
	v_perm_b32 v50, v13, v14, 0x2010007
	v_alignbit_b32 v51, v15, v14, 24
	v_alignbit_b32 v101, v17, v16, 24
	v_perm_b32 v102, v17, v18, 0x2010007
	v_alignbit_b32 v103, v19, v18, 24
	v_alignbit_b32 v113, v21, v20, 24
	v_perm_b32 v114, v21, v22, 0x2010007
	v_lshrrev_b32_e32 v3, 24, v3
	v_perm_b32 v0, v0, v0, 0x3020104
	v_perm_b32 v2, v2, v2, 0x3060504
	v_or_b32_e32 v4, v5, v4
	s_clause 0x4
	flat_store_b128 v[66:67], v[28:31]
	flat_store_b128 v[66:67], v[28:31] offset:560
	flat_store_b8 v[66:67], v3 offset:590
	flat_store_b96 v[66:67], v[0:2] offset:576
	flat_store_b16 v[66:67], v4 offset:588
	s_wait_loadcnt_dscnt 0x814
	v_ashrrev_i32_e32 v2, 31, v116
	s_wait_loadcnt_dscnt 0x711
	v_mov_b32_e32 v115, v23
	s_wait_loadcnt_dscnt 0x60b
	flat_store_b8 v[66:67], v117 offset:687
	s_wait_loadcnt_dscnt 0x50b
	flat_store_b128 v[66:67], v[24:27] offset:671
	s_wait_loadcnt_dscnt 0x40b
	flat_store_b128 v[66:67], v[32:35] offset:591
	;; [unrolled: 2-line block ×6, first 2 shown]
	flat_load_b64 v[0:1], v[54:55] offset:16
	v_mov_b32_e32 v100, 0
	s_wait_loadcnt_dscnt 0x0
	v_add_co_u32 v0, vcc_lo, v0, v116
	s_wait_alu 0xfffd
	v_add_co_ci_u32_e64 v1, null, v1, v2, vcc_lo
	flat_store_b128 v[0:1], v[28:31]
	s_clause 0x4
	flat_load_b32 v7, v[66:67] offset:776
	flat_load_b32 v8, v[66:67] offset:764
	flat_load_b32 v9, v[66:67] offset:744
	flat_load_b128 v[0:3], v[66:67] offset:748
	flat_load_b96 v[4:6], v[66:67] offset:728
	s_wait_loadcnt_dscnt 0x404
	v_add_nc_u32_e32 v101, 1, v7
	s_wait_loadcnt_dscnt 0x101
	v_sub_nc_u32_e32 v10, v0, v3
	s_delay_alu instid0(VALU_DEP_2) | instskip(SKIP_4) | instid1(VALU_DEP_1)
	v_sub_nc_u32_e32 v1, v101, v8
	s_clause 0x1
	flat_store_b32 v[66:67], v101 offset:776
	flat_store_b64 v[66:67], v[100:101] offset:760
	v_add_nc_u32_e32 v9, v9, v1
	v_ashrrev_i32_e32 v1, 31, v9
	s_wait_loadcnt_dscnt 0x2
	v_sub_nc_u32_e32 v6, v9, v6
	v_mov_b32_e32 v8, v9
	flat_store_b64 v[66:67], v[9:10] offset:744
	v_lshrrev_b32_e32 v1, 29, v1
	v_lshlrev_b32_e32 v6, 7, v6
	s_delay_alu instid0(VALU_DEP_2) | instskip(NEXT) | instid1(VALU_DEP_1)
	v_add_nc_u32_e32 v1, v9, v1
	v_and_b32_e32 v1, -8, v1
	s_delay_alu instid0(VALU_DEP_1) | instskip(NEXT) | instid1(VALU_DEP_1)
	v_sub_nc_u32_e32 v0, v9, v1
	v_xor_b32_e32 v7, v10, v0
	flat_load_b128 v[0:3], v[66:67] offset:576
	v_sub_nc_u32_e32 v5, v7, v5
	s_delay_alu instid0(VALU_DEP_1) | instskip(NEXT) | instid1(VALU_DEP_1)
	v_lshlrev_b32_e32 v5, 4, v5
	v_add3_u32 v6, v6, v5, v4
	flat_store_b96 v[66:67], v[6:8] offset:728
	flat_load_b64 v[4:5], v[54:55] offset:16
	v_ashrrev_i32_e32 v7, 31, v6
	s_wait_loadcnt_dscnt 0x0
	v_add_co_u32 v4, vcc_lo, v4, v6
	s_wait_alu 0xfffd
	s_delay_alu instid0(VALU_DEP_2)
	v_add_co_ci_u32_e64 v5, null, v5, v7, vcc_lo
	flat_store_b128 v[4:5], v[0:3]
	s_clause 0x4
	flat_load_b32 v7, v[66:67] offset:776
	flat_load_b32 v8, v[66:67] offset:764
	flat_load_b32 v9, v[66:67] offset:744
	flat_load_b128 v[0:3], v[66:67] offset:748
	flat_load_b96 v[4:6], v[66:67] offset:728
	s_wait_loadcnt_dscnt 0x404
	v_add_nc_u32_e32 v101, 1, v7
	s_wait_loadcnt_dscnt 0x101
	v_sub_nc_u32_e32 v10, v0, v3
	s_delay_alu instid0(VALU_DEP_2) | instskip(SKIP_4) | instid1(VALU_DEP_1)
	v_sub_nc_u32_e32 v1, v101, v8
	s_clause 0x1
	flat_store_b32 v[66:67], v101 offset:776
	flat_store_b64 v[66:67], v[100:101] offset:760
	v_add_nc_u32_e32 v9, v9, v1
	v_ashrrev_i32_e32 v1, 31, v9
	s_wait_loadcnt_dscnt 0x2
	v_sub_nc_u32_e32 v6, v9, v6
	v_mov_b32_e32 v8, v9
	flat_store_b64 v[66:67], v[9:10] offset:744
	v_lshrrev_b32_e32 v1, 29, v1
	v_lshlrev_b32_e32 v6, 7, v6
	s_delay_alu instid0(VALU_DEP_2) | instskip(NEXT) | instid1(VALU_DEP_1)
	v_add_nc_u32_e32 v1, v9, v1
	v_and_b32_e32 v1, -8, v1
	s_delay_alu instid0(VALU_DEP_1) | instskip(NEXT) | instid1(VALU_DEP_1)
	v_sub_nc_u32_e32 v0, v9, v1
	v_xor_b32_e32 v7, v10, v0
	flat_load_b128 v[0:3], v[66:67] offset:592
	v_sub_nc_u32_e32 v5, v7, v5
	s_delay_alu instid0(VALU_DEP_1) | instskip(NEXT) | instid1(VALU_DEP_1)
	v_lshlrev_b32_e32 v5, 4, v5
	v_add3_u32 v6, v6, v5, v4
	flat_store_b96 v[66:67], v[6:8] offset:728
	flat_load_b64 v[4:5], v[54:55] offset:16
	v_ashrrev_i32_e32 v7, 31, v6
	s_wait_loadcnt_dscnt 0x0
	v_add_co_u32 v4, vcc_lo, v4, v6
	s_wait_alu 0xfffd
	s_delay_alu instid0(VALU_DEP_2)
	;; [unrolled: 43-line block ×7, first 2 shown]
	v_add_co_ci_u32_e64 v5, null, v5, v7, vcc_lo
	flat_store_b128 v[4:5], v[0:3]
	s_clause 0x3
	flat_load_b32 v7, v[66:67] offset:776
	flat_load_b64 v[3:4], v[66:67] offset:760
	flat_load_b64 v[5:6], v[66:67] offset:744
	flat_load_b96 v[0:2], v[66:67] offset:728
	s_clause 0x8
	scratch_load_b128 v[32:35], off, s33 offset:512
	scratch_load_b128 v[36:39], off, s33 offset:576
	;; [unrolled: 1-line block ×9, first 2 shown]
	s_wait_loadcnt_dscnt 0xc03
	v_add_nc_u32_e32 v101, -7, v7
	s_wait_loadcnt_dscnt 0xa01
	v_sub_nc_u32_e32 v6, v6, v3
	s_wait_loadcnt 0x8
	v_perm_b32 v33, v33, v33, 0x3020104
	v_sub_nc_u32_e32 v4, v101, v4
	s_clause 0x1
	flat_store_b32 v[66:67], v101 offset:776
	flat_store_b64 v[66:67], v[100:101] offset:760
	v_perm_b32 v32, v32, v32, 0x3020504
	v_add_nc_u32_e32 v5, v5, v4
	s_delay_alu instid0(VALU_DEP_1)
	v_ashrrev_i32_e32 v4, 31, v5
	s_wait_dscnt 0x2
	v_sub_nc_u32_e32 v2, v5, v2
	flat_store_b64 v[66:67], v[5:6] offset:744
	v_lshrrev_b32_e32 v4, 29, v4
	v_lshlrev_b32_e32 v2, 7, v2
	s_delay_alu instid0(VALU_DEP_2) | instskip(NEXT) | instid1(VALU_DEP_1)
	v_add_nc_u32_e32 v4, v5, v4
	v_and_b32_e32 v4, -8, v4
	s_delay_alu instid0(VALU_DEP_1) | instskip(SKIP_1) | instid1(VALU_DEP_2)
	v_sub_nc_u32_e32 v3, v5, v4
	v_mov_b32_e32 v4, v5
	v_xor_b32_e32 v3, v6, v3
	s_delay_alu instid0(VALU_DEP_1) | instskip(NEXT) | instid1(VALU_DEP_1)
	v_sub_nc_u32_e32 v1, v3, v1
	v_lshlrev_b32_e32 v1, 4, v1
	s_delay_alu instid0(VALU_DEP_1)
	v_add3_u32 v2, v2, v1, v0
	flat_store_b96 v[66:67], v[2:4] offset:728
	s_clause 0x7
	flat_load_b128 v[4:7], v[52:53] offset:912
	flat_load_b128 v[0:3], v[52:53] offset:896
	;; [unrolled: 1-line block ×8, first 2 shown]
	s_wait_loadcnt_dscnt 0x606
	v_wmma_f32_16x16x16_fp8_fp8 v[0:7], v[96:97], v[32:33], v[0:7]
	s_wait_loadcnt_dscnt 0x404
	v_wmma_f32_16x16x16_fp8_fp8 v[8:15], v[96:97], v[36:37], v[8:15]
	;; [unrolled: 2-line block ×3, first 2 shown]
	v_wmma_f32_16x16x16_fp8_fp8 v[0:7], v[98:99], v[34:35], v[0:7]
	scratch_load_b128 v[32:35], off, s33 offset:608
	v_wmma_f32_16x16x16_fp8_fp8 v[8:15], v[98:99], v[38:39], v[8:15]
	scratch_load_b128 v[36:39], off, s33 offset:672
	;; [unrolled: 2-line block ×3, first 2 shown]
	s_wait_loadcnt_dscnt 0x300
	v_wmma_f32_16x16x16_fp8_fp8 v[24:31], v[96:97], v[112:113], v[24:31]
	v_wmma_f32_16x16x16_fp8_fp8 v[0:7], v[84:85], v[116:117], v[0:7]
	;; [unrolled: 1-line block ×4, first 2 shown]
	s_delay_alu instid0(VALU_DEP_4)
	v_wmma_f32_16x16x16_fp8_fp8 v[24:31], v[98:99], v[114:115], v[24:31]
	s_clause 0x1
	scratch_load_b128 v[96:99], off, s33 offset:560
	scratch_load_b128 v[112:115], off, s33 offset:624
	v_wmma_f32_16x16x16_fp8_fp8 v[0:7], v[86:87], v[118:119], v[0:7]
	scratch_load_b128 v[116:119], off, s33 offset:688
	v_wmma_f32_16x16x16_fp8_fp8 v[8:15], v[86:87], v[130:131], v[8:15]
	;; [unrolled: 2-line block ×3, first 2 shown]
	v_wmma_f32_16x16x16_fp8_fp8 v[16:23], v[86:87], v[134:135], v[16:23]
	v_wmma_f32_16x16x16_fp8_fp8 v[0:7], v[80:81], v[148:149], v[0:7]
	s_delay_alu instid0(VALU_DEP_3) | instskip(NEXT) | instid1(VALU_DEP_2)
	v_wmma_f32_16x16x16_fp8_fp8 v[24:31], v[86:87], v[146:147], v[24:31]
	v_wmma_f32_16x16x16_fp8_fp8 v[0:7], v[82:83], v[150:151], v[0:7]
	s_wait_loadcnt 0x6
	v_wmma_f32_16x16x16_fp8_fp8 v[8:15], v[80:81], v[32:33], v[8:15]
	s_wait_loadcnt 0x5
	;; [unrolled: 2-line block ×3, first 2 shown]
	v_wmma_f32_16x16x16_fp8_fp8 v[24:31], v[80:81], v[48:49], v[24:31]
	v_wmma_f32_16x16x16_fp8_fp8 v[8:15], v[82:83], v[34:35], v[8:15]
	s_delay_alu instid0(VALU_DEP_3) | instskip(NEXT) | instid1(VALU_DEP_3)
	v_wmma_f32_16x16x16_fp8_fp8 v[16:23], v[82:83], v[38:39], v[16:23]
	v_wmma_f32_16x16x16_fp8_fp8 v[24:31], v[82:83], v[50:51], v[24:31]
	s_wait_loadcnt 0x3
	v_wmma_f32_16x16x16_fp8_fp8 v[0:7], v[68:69], v[96:97], v[0:7]
	s_wait_loadcnt 0x2
	;; [unrolled: 2-line block ×4, first 2 shown]
	v_wmma_f32_16x16x16_fp8_fp8 v[24:31], v[68:69], v[128:129], v[24:31]
	v_wmma_f32_16x16x16_fp8_fp8 v[0:7], v[70:71], v[98:99], v[0:7]
	;; [unrolled: 1-line block ×4, first 2 shown]
	s_delay_alu instid0(VALU_DEP_4)
	v_wmma_f32_16x16x16_fp8_fp8 v[24:31], v[70:71], v[130:131], v[24:31]
	s_clause 0x7
	flat_store_b128 v[52:53], v[0:3] offset:896
	flat_store_b128 v[52:53], v[4:7] offset:912
	;; [unrolled: 1-line block ×8, first 2 shown]
	s_wait_dscnt 0x0
	s_barrier_signal -1
	s_barrier_wait -1
	s_clause 0x3
	flat_load_b64 v[3:4], v[64:65] offset:1184
	flat_load_b64 v[5:6], v[64:65] offset:1148
	flat_load_b32 v9, v[64:65] offset:1176
	flat_load_b96 v[0:2], v[64:65] offset:1132
	flat_load_b64 v[7:8], v[54:55] offset:16
	s_wait_loadcnt_dscnt 0x404
	v_add_nc_u32_e32 v10, 16, v4
	v_add_nc_u32_e32 v11, 64, v4
	;; [unrolled: 1-line block ×3, first 2 shown]
	s_wait_loadcnt_dscnt 0x303
	v_ashrrev_i32_e32 v12, 31, v5
	s_wait_loadcnt_dscnt 0x202
	v_sub_nc_u32_e32 v6, v6, v9
	v_ashrrev_i32_e32 v13, 31, v10
	v_ashrrev_i32_e32 v14, 31, v11
	;; [unrolled: 1-line block ×3, first 2 shown]
	v_lshrrev_b32_e32 v9, 29, v12
	s_wait_loadcnt_dscnt 0x101
	v_sub_nc_u32_e32 v2, v5, v2
	v_lshrrev_b32_e32 v12, 28, v13
	v_lshrrev_b32_e32 v13, 28, v14
	;; [unrolled: 1-line block ×3, first 2 shown]
	v_add_nc_u32_e32 v9, v5, v9
	v_lshl_add_u32 v2, v2, 7, v0
	v_add_nc_u32_e32 v12, v10, v12
	v_add_nc_u32_e32 v13, v11, v13
	;; [unrolled: 1-line block ×3, first 2 shown]
	v_and_b32_e32 v9, -8, v9
	v_sub_nc_u32_e32 v2, v2, v3
	v_lshrrev_b32_e32 v15, 4, v12
	v_lshrrev_b32_e32 v16, 4, v13
	;; [unrolled: 1-line block ×3, first 2 shown]
	v_sub_nc_u32_e32 v3, v5, v9
	v_and_b32_e32 v12, -16, v12
	v_add_nc_u32_e32 v5, v15, v6
	v_add_nc_u32_e32 v9, v16, v6
	;; [unrolled: 1-line block ×3, first 2 shown]
	v_and_b32_e32 v13, -16, v13
	v_sub_nc_u32_e32 v10, v10, v12
	v_xor_b32_e32 v5, v5, v3
	v_xor_b32_e32 v9, v9, v3
	;; [unrolled: 1-line block ×3, first 2 shown]
	v_and_b32_e32 v6, -16, v14
	s_delay_alu instid0(VALU_DEP_4) | instskip(NEXT) | instid1(VALU_DEP_4)
	v_sub_nc_u32_e32 v5, v5, v1
	v_sub_nc_u32_e32 v9, v9, v1
	s_delay_alu instid0(VALU_DEP_4)
	v_sub_nc_u32_e32 v1, v3, v1
	v_sub_nc_u32_e32 v3, v11, v13
	;; [unrolled: 1-line block ×3, first 2 shown]
	v_lshlrev_b32_e32 v5, 4, v5
	v_lshlrev_b32_e32 v6, 4, v9
	;; [unrolled: 1-line block ×3, first 2 shown]
	v_ashrrev_i32_e32 v9, 31, v0
	s_wait_loadcnt_dscnt 0x0
	v_add_co_u32 v0, vcc_lo, v7, v0
	v_add3_u32 v5, v10, v2, v5
	v_add3_u32 v6, v3, v2, v6
	;; [unrolled: 1-line block ×3, first 2 shown]
	s_wait_alu 0xfffd
	v_add_co_ci_u32_e64 v1, null, v8, v9, vcc_lo
	v_ashrrev_i32_e32 v3, 31, v5
	v_ashrrev_i32_e32 v9, 31, v6
	v_add_co_u32 v2, vcc_lo, v7, v5
	v_ashrrev_i32_e32 v11, 31, v10
	s_wait_alu 0xfffd
	v_add_co_ci_u32_e64 v3, null, v8, v3, vcc_lo
	v_add_co_u32 v4, vcc_lo, v7, v6
	s_wait_alu 0xfffd
	v_add_co_ci_u32_e64 v5, null, v8, v9, vcc_lo
	v_add_co_u32 v6, vcc_lo, v7, v10
	s_wait_alu 0xfffd
	v_add_co_ci_u32_e64 v7, null, v8, v11, vcc_lo
	s_clause 0x3
	flat_load_b128 v[66:69], v[0:1]
	flat_load_b128 v[80:83], v[2:3]
	;; [unrolled: 1-line block ×4, first 2 shown]
	v_dual_mov_b32 v0, s12 :: v_dual_mov_b32 v1, s13
	v_dual_mov_b32 v2, s14 :: v_dual_mov_b32 v3, s15
	s_wait_alu 0xfffe
	s_swappc_b64 s[30:31], s[6:7]
	; sched_group_barrier mask(0x00000008) size(8) SyncID(0)
	; sched_group_barrier mask(0x00000100) size(1) SyncID(0)
	;; [unrolled: 1-line block ×8, first 2 shown]
	; sched_barrier mask(0x00000000)
	scratch_load_b128 v[32:35], off, s33 offset:768
	s_clause 0x1
	flat_load_b128 v[4:7], v[52:53] offset:16
	flat_load_b128 v[0:3], v[52:53]
	scratch_load_b128 v[36:39], off, s33 offset:832
	s_clause 0x1
	flat_load_b128 v[12:15], v[52:53] offset:48
	flat_load_b128 v[8:11], v[52:53] offset:32
	s_clause 0x2
	scratch_load_b128 v[48:51], off, s33 offset:784
	scratch_load_b128 v[112:115], off, s33 offset:848
	scratch_load_b128 v[116:119], off, s33 offset:896
	s_clause 0x1
	flat_load_b128 v[20:23], v[52:53] offset:80
	flat_load_b128 v[16:19], v[52:53] offset:64
	scratch_load_b128 v[128:131], off, s33 offset:960
	s_clause 0x1
	flat_load_b128 v[28:31], v[52:53] offset:112
	flat_load_b128 v[24:27], v[52:53] offset:96
	s_clause 0x2
	scratch_load_b128 v[132:135], off, s33 offset:912
	scratch_load_b128 v[144:147], off, s33 offset:976
	;; [unrolled: 1-line block ×3, first 2 shown]
	s_wait_loadcnt_dscnt 0xe06
	v_wmma_f32_16x16x16_fp8_fp8 v[0:7], v[66:67], v[32:33], v[0:7]
	s_wait_loadcnt_dscnt 0xb04
	v_wmma_f32_16x16x16_fp8_fp8 v[8:15], v[66:67], v[36:37], v[8:15]
	s_delay_alu instid0(VALU_DEP_2)
	v_wmma_f32_16x16x16_fp8_fp8 v[0:7], v[68:69], v[34:35], v[0:7]
	scratch_load_b128 v[32:35], off, s33 offset:864
	v_wmma_f32_16x16x16_fp8_fp8 v[8:15], v[68:69], v[38:39], v[8:15]
	scratch_load_b128 v[36:39], off, s33 offset:816
	s_wait_loadcnt 0xc
	v_wmma_f32_16x16x16_fp8_fp8 v[0:7], v[80:81], v[48:49], v[0:7]
	s_wait_loadcnt 0xb
	v_wmma_f32_16x16x16_fp8_fp8 v[8:15], v[80:81], v[112:113], v[8:15]
	s_delay_alu instid0(VALU_DEP_2)
	v_wmma_f32_16x16x16_fp8_fp8 v[0:7], v[82:83], v[50:51], v[0:7]
	scratch_load_b128 v[48:51], off, s33 offset:880
	v_wmma_f32_16x16x16_fp8_fp8 v[8:15], v[82:83], v[114:115], v[8:15]
	s_wait_loadcnt_dscnt 0x902
	v_wmma_f32_16x16x16_fp8_fp8 v[16:23], v[66:67], v[116:117], v[16:23]
	scratch_load_b128 v[112:115], off, s33 offset:928
	s_wait_loadcnt_dscnt 0x700
	v_wmma_f32_16x16x16_fp8_fp8 v[24:31], v[66:67], v[128:129], v[24:31]
	; sched_group_barrier mask(0x00000008) size(8) SyncID(0)
	; sched_group_barrier mask(0x00000100) size(1) SyncID(0)
	v_wmma_f32_16x16x16_fp8_fp8 v[16:23], v[68:69], v[118:119], v[16:23]
	scratch_load_b128 v[116:119], off, s33 offset:992
	v_wmma_f32_16x16x16_fp8_fp8 v[24:31], v[68:69], v[130:131], v[24:31]
	s_clause 0x1
	scratch_load_b128 v[66:69], off, s33 offset:944
	scratch_load_b128 v[128:131], off, s33 offset:1008
	s_wait_loadcnt 0x9
	v_wmma_f32_16x16x16_fp8_fp8 v[16:23], v[80:81], v[132:133], v[16:23]
	s_wait_loadcnt 0x8
	v_wmma_f32_16x16x16_fp8_fp8 v[24:31], v[80:81], v[144:145], v[24:31]
	s_delay_alu instid0(VALU_DEP_2) | instskip(NEXT) | instid1(VALU_DEP_2)
	v_wmma_f32_16x16x16_fp8_fp8 v[16:23], v[82:83], v[134:135], v[16:23]
	v_wmma_f32_16x16x16_fp8_fp8 v[24:31], v[82:83], v[146:147], v[24:31]
	s_wait_loadcnt 0x7
	v_wmma_f32_16x16x16_fp8_fp8 v[0:7], v[84:85], v[148:149], v[0:7]
	; sched_group_barrier mask(0x00000008) size(8) SyncID(0)
	; sched_group_barrier mask(0x00000100) size(1) SyncID(0)
	s_delay_alu instid0(VALU_DEP_1) | instskip(SKIP_3) | instid1(VALU_DEP_2)
	v_wmma_f32_16x16x16_fp8_fp8 v[0:7], v[86:87], v[150:151], v[0:7]
	s_wait_loadcnt 0x6
	v_wmma_f32_16x16x16_fp8_fp8 v[8:15], v[84:85], v[32:33], v[8:15]
	s_wait_loadcnt 0x5
	v_wmma_f32_16x16x16_fp8_fp8 v[0:7], v[96:97], v[36:37], v[0:7]
	s_delay_alu instid0(VALU_DEP_2)
	v_wmma_f32_16x16x16_fp8_fp8 v[8:15], v[86:87], v[34:35], v[8:15]
	scratch_load_b128 v[32:35], off, s33 offset:256
	v_wmma_f32_16x16x16_fp8_fp8 v[0:7], v[98:99], v[38:39], v[0:7]
	s_wait_loadcnt 0x5
	v_wmma_f32_16x16x16_fp8_fp8 v[8:15], v[96:97], v[48:49], v[8:15]
	s_clause 0x1
	flat_store_b128 v[52:53], v[0:3]
	flat_store_b128 v[52:53], v[4:7] offset:16
	v_wmma_f32_16x16x16_fp8_fp8 v[8:15], v[98:99], v[50:51], v[8:15]
	s_wait_loadcnt 0x4
	v_wmma_f32_16x16x16_fp8_fp8 v[16:23], v[84:85], v[112:113], v[16:23]
	; sched_group_barrier mask(0x00000008) size(8) SyncID(0)
	; sched_group_barrier mask(0x00000100) size(1) SyncID(0)
	s_wait_loadcnt 0x3
	v_wmma_f32_16x16x16_fp8_fp8 v[24:31], v[84:85], v[116:117], v[24:31]
	flat_store_b128 v[52:53], v[8:11] offset:32
	v_wmma_f32_16x16x16_fp8_fp8 v[16:23], v[86:87], v[114:115], v[16:23]
	flat_store_b128 v[52:53], v[12:15] offset:48
	v_wmma_f32_16x16x16_fp8_fp8 v[24:31], v[86:87], v[118:119], v[24:31]
	s_wait_loadcnt 0x2
	v_wmma_f32_16x16x16_fp8_fp8 v[16:23], v[96:97], v[66:67], v[16:23]
	s_wait_loadcnt 0x1
	s_delay_alu instid0(VALU_DEP_2) | instskip(NEXT) | instid1(VALU_DEP_2)
	v_wmma_f32_16x16x16_fp8_fp8 v[24:31], v[96:97], v[128:129], v[24:31]
	v_wmma_f32_16x16x16_fp8_fp8 v[16:23], v[98:99], v[68:69], v[16:23]
	s_delay_alu instid0(VALU_DEP_2)
	v_wmma_f32_16x16x16_fp8_fp8 v[24:31], v[98:99], v[130:131], v[24:31]
	; sched_group_barrier mask(0x00000008) size(8) SyncID(0)
	; sched_group_barrier mask(0x00000100) size(1) SyncID(0)
	s_clause 0x3
	flat_store_b128 v[52:53], v[20:23] offset:80
	flat_store_b128 v[52:53], v[16:19] offset:64
	;; [unrolled: 1-line block ×4, first 2 shown]
	s_clause 0x3
	flat_load_b64 v[7:8], v[64:65] offset:1148
	flat_load_b64 v[9:10], v[64:65] offset:1164
	flat_load_b128 v[0:3], v[64:65] offset:1176
	flat_load_b96 v[4:6], v[64:65] offset:1132
	flat_load_b64 v[11:12], v[54:55] offset:16
	s_wait_loadcnt 0x5
	v_ashrrev_i32_e32 v18, 16, v32
	v_ashrrev_i32_e32 v19, 8, v32
	;; [unrolled: 1-line block ×27, first 2 shown]
	s_wait_loadcnt_dscnt 0x303
	v_sub_nc_u32_e32 v7, v7, v10
	s_wait_loadcnt_dscnt 0x202
	v_add_nc_u32_e32 v13, 16, v3
	v_add_nc_u32_e32 v0, v9, v0
	v_sub_nc_u32_e32 v10, v8, v9
	s_wait_loadcnt_dscnt 0x101
	v_sub_nc_u32_e32 v2, v4, v2
	v_add3_u32 v1, v7, v1, 32
	v_add_nc_u32_e32 v7, 64, v3
	v_add_nc_u32_e32 v3, 0x50, v3
	v_ashrrev_i32_e32 v9, 31, v13
	v_sub_nc_u32_e32 v0, v8, v0
	v_ashrrev_i32_e32 v8, 31, v1
	v_ashrrev_i32_e32 v14, 31, v7
	;; [unrolled: 1-line block ×3, first 2 shown]
	v_lshrrev_b32_e32 v9, 28, v9
	v_sub_nc_u32_e32 v6, v1, v6
	v_lshrrev_b32_e32 v8, 29, v8
	v_lshrrev_b32_e32 v14, 28, v14
	;; [unrolled: 1-line block ×3, first 2 shown]
	v_add_nc_u32_e32 v9, v13, v9
	v_lshlrev_b32_e32 v6, 7, v6
	v_add_nc_u32_e32 v8, v1, v8
	v_add_nc_u32_e32 v14, v7, v14
	;; [unrolled: 1-line block ×3, first 2 shown]
	v_lshrrev_b32_e32 v16, 4, v9
	v_and_b32_e32 v9, -16, v9
	v_and_b32_e32 v8, -8, v8
	v_lshrrev_b32_e32 v17, 4, v14
	v_lshrrev_b32_e32 v70, 4, v15
	v_and_b32_e32 v14, -16, v14
	v_sub_nc_u32_e32 v9, v13, v9
	v_sub_nc_u32_e32 v1, v1, v8
	v_and_b32_e32 v8, -16, v15
	v_add_nc_u32_e32 v15, v16, v0
	v_add_nc_u32_e32 v16, v17, v0
	;; [unrolled: 1-line block ×3, first 2 shown]
	v_xor_b32_e32 v10, v1, v10
	v_add_nc_u32_e32 v2, v2, v6
	v_xor_b32_e32 v13, v15, v1
	v_xor_b32_e32 v15, v16, v1
	;; [unrolled: 1-line block ×3, first 2 shown]
	v_sub_nc_u32_e32 v1, v10, v5
	v_sub_nc_u32_e32 v7, v7, v14
	;; [unrolled: 1-line block ×5, first 2 shown]
	v_lshlrev_b32_e32 v1, 4, v1
	v_sub_nc_u32_e32 v3, v3, v8
	v_lshlrev_b32_e32 v5, 4, v10
	v_lshlrev_b32_e32 v8, 4, v13
	;; [unrolled: 1-line block ×3, first 2 shown]
	v_add3_u32 v1, v6, v4, v1
	v_ashrrev_i32_e32 v70, 12, v35
	v_add3_u32 v4, v9, v2, v5
	v_add3_u32 v5, v7, v2, v8
	;; [unrolled: 1-line block ×3, first 2 shown]
	v_ashrrev_i32_e32 v6, 31, v1
	s_wait_loadcnt_dscnt 0x0
	v_add_co_u32 v0, vcc_lo, v11, v1
	v_ashrrev_i32_e32 v7, 31, v4
	v_ashrrev_i32_e32 v8, 31, v5
	;; [unrolled: 1-line block ×3, first 2 shown]
	v_add_co_u32 v2, s0, v11, v4
	v_add_co_u32 v4, s1, v11, v5
	;; [unrolled: 1-line block ×3, first 2 shown]
	s_wait_alu 0xfffd
	v_add_co_ci_u32_e64 v1, null, v12, v6, vcc_lo
	s_wait_alu 0xf1ff
	v_add_co_ci_u32_e64 v3, null, v12, v7, s0
	v_add_co_ci_u32_e64 v5, null, v12, v8, s1
	;; [unrolled: 1-line block ×3, first 2 shown]
	s_clause 0x3
	flat_load_b128 v[12:15], v[0:1]
	flat_load_b128 v[8:11], v[2:3]
	;; [unrolled: 1-line block ×4, first 2 shown]
	;;#ASMSTART
	v_cvt_off_f32_i4 v32, v32
	;;#ASMEND
	;;#ASMSTART
	v_cvt_off_f32_i4 v80, v18
	;;#ASMEND
	;; [unrolled: 3-line block ×32, first 2 shown]
	scratch_load_b128 v[16:19], off, s33 offset:320
	v_dual_mov_b32 v20, v100 :: v_dual_mov_b32 v21, v100
	v_dual_mov_b32 v22, v100 :: v_dual_mov_b32 v23, v100
	;; [unrolled: 1-line block ×4, first 2 shown]
	s_delay_alu instid0(VALU_DEP_4)
	v_cvt_pk_fp8_f32 v20, v32, v80
	v_cvt_pk_fp8_f32 v21, v81, v82
	;; [unrolled: 1-line block ×8, first 2 shown]
	v_cvt_pk_fp8_f32 v20, v83, v84 op_sel:[0,0,1]
	v_cvt_pk_fp8_f32 v21, v85, v86 op_sel:[0,0,1]
	;; [unrolled: 1-line block ×8, first 2 shown]
	s_clause 0x1
	scratch_store_b128 off, v[20:23], s33 offset:768
	scratch_store_b128 off, v[24:27], s33 offset:784
	s_wait_loadcnt 0x0
	;;#ASMSTART
	v_cvt_off_f32_i4 v28, v16
	;;#ASMEND
	v_ashrrev_i32_e32 v20, 16, v16
	v_ashrrev_i32_e32 v21, 8, v16
	;; [unrolled: 1-line block ×28, first 2 shown]
	;;#ASMSTART
	v_cvt_off_f32_i4 v70, v20
	;;#ASMEND
	;;#ASMSTART
	v_cvt_off_f32_i4 v71, v21
	;;#ASMEND
	;; [unrolled: 3-line block ×31, first 2 shown]
	scratch_load_b128 v[16:19], off, s33 offset:384
	v_dual_mov_b32 v20, v100 :: v_dual_mov_b32 v21, v100
	v_dual_mov_b32 v22, v100 :: v_dual_mov_b32 v23, v100
	v_dual_mov_b32 v24, v100 :: v_dual_mov_b32 v25, v100
	v_dual_mov_b32 v26, v100 :: v_dual_mov_b32 v27, v100
	s_delay_alu instid0(VALU_DEP_4)
	v_cvt_pk_fp8_f32 v20, v28, v70
	v_cvt_pk_fp8_f32 v21, v71, v80
	;; [unrolled: 1-line block ×8, first 2 shown]
	v_cvt_pk_fp8_f32 v20, v81, v82 op_sel:[0,0,1]
	v_cvt_pk_fp8_f32 v21, v83, v84 op_sel:[0,0,1]
	;; [unrolled: 1-line block ×8, first 2 shown]
	s_clause 0x1
	scratch_store_b128 off, v[20:23], s33 offset:832
	scratch_store_b128 off, v[24:27], s33 offset:848
	s_wait_loadcnt 0x0
	;;#ASMSTART
	v_cvt_off_f32_i4 v28, v16
	;;#ASMEND
	v_ashrrev_i32_e32 v20, 16, v16
	v_ashrrev_i32_e32 v21, 8, v16
	;; [unrolled: 1-line block ×28, first 2 shown]
	;;#ASMSTART
	v_cvt_off_f32_i4 v70, v20
	;;#ASMEND
	;;#ASMSTART
	v_cvt_off_f32_i4 v71, v21
	;;#ASMEND
	;; [unrolled: 3-line block ×31, first 2 shown]
	scratch_load_b128 v[16:19], off, s33 offset:448
	v_dual_mov_b32 v20, v100 :: v_dual_mov_b32 v21, v100
	v_dual_mov_b32 v22, v100 :: v_dual_mov_b32 v23, v100
	;; [unrolled: 1-line block ×4, first 2 shown]
	s_delay_alu instid0(VALU_DEP_4)
	v_cvt_pk_fp8_f32 v20, v28, v70
	v_cvt_pk_fp8_f32 v21, v71, v80
	;; [unrolled: 1-line block ×8, first 2 shown]
	v_cvt_pk_fp8_f32 v20, v81, v82 op_sel:[0,0,1]
	v_cvt_pk_fp8_f32 v21, v83, v84 op_sel:[0,0,1]
	;; [unrolled: 1-line block ×8, first 2 shown]
	s_clause 0x1
	scratch_store_b128 off, v[20:23], s33 offset:896
	scratch_store_b128 off, v[24:27], s33 offset:912
	s_wait_loadcnt 0x0
	;;#ASMSTART
	v_cvt_off_f32_i4 v28, v16
	;;#ASMEND
	v_ashrrev_i32_e32 v20, 16, v16
	v_ashrrev_i32_e32 v21, 8, v16
	;; [unrolled: 1-line block ×28, first 2 shown]
	;;#ASMSTART
	v_cvt_off_f32_i4 v70, v20
	;;#ASMEND
	;;#ASMSTART
	v_cvt_off_f32_i4 v71, v21
	;;#ASMEND
	;; [unrolled: 3-line block ×31, first 2 shown]
	scratch_load_b128 v[16:19], off, s33 offset:480
	v_dual_mov_b32 v20, v100 :: v_dual_mov_b32 v21, v100
	v_dual_mov_b32 v22, v100 :: v_dual_mov_b32 v23, v100
	;; [unrolled: 1-line block ×4, first 2 shown]
	s_delay_alu instid0(VALU_DEP_4)
	v_cvt_pk_fp8_f32 v20, v28, v70
	v_cvt_pk_fp8_f32 v21, v71, v80
	;; [unrolled: 1-line block ×8, first 2 shown]
	v_cvt_pk_fp8_f32 v20, v81, v82 op_sel:[0,0,1]
	v_cvt_pk_fp8_f32 v21, v83, v84 op_sel:[0,0,1]
	;; [unrolled: 1-line block ×8, first 2 shown]
	s_clause 0x1
	scratch_store_b128 off, v[20:23], s33 offset:960
	scratch_store_b128 off, v[24:27], s33 offset:976
	s_wait_loadcnt 0x0
	;;#ASMSTART
	v_cvt_off_f32_i4 v28, v16
	;;#ASMEND
	v_ashrrev_i32_e32 v20, 16, v16
	v_ashrrev_i32_e32 v21, 8, v16
	;; [unrolled: 1-line block ×28, first 2 shown]
	;;#ASMSTART
	v_cvt_off_f32_i4 v70, v20
	;;#ASMEND
	;;#ASMSTART
	v_cvt_off_f32_i4 v71, v21
	;;#ASMEND
	;; [unrolled: 3-line block ×31, first 2 shown]
	scratch_load_b128 v[16:19], off, s33 offset:416
	v_dual_mov_b32 v20, v100 :: v_dual_mov_b32 v21, v100
	v_dual_mov_b32 v22, v100 :: v_dual_mov_b32 v23, v100
	;; [unrolled: 1-line block ×4, first 2 shown]
	s_delay_alu instid0(VALU_DEP_4)
	v_cvt_pk_fp8_f32 v20, v28, v70
	v_cvt_pk_fp8_f32 v21, v71, v80
	;; [unrolled: 1-line block ×8, first 2 shown]
	v_cvt_pk_fp8_f32 v20, v81, v82 op_sel:[0,0,1]
	v_cvt_pk_fp8_f32 v21, v83, v84 op_sel:[0,0,1]
	;; [unrolled: 1-line block ×8, first 2 shown]
	s_clause 0x1
	scratch_store_b128 off, v[20:23], s33 offset:992
	scratch_store_b128 off, v[24:27], s33 offset:1008
	s_wait_loadcnt 0x0
	;;#ASMSTART
	v_cvt_off_f32_i4 v28, v16
	;;#ASMEND
	v_ashrrev_i32_e32 v20, 16, v16
	v_ashrrev_i32_e32 v21, 8, v16
	;; [unrolled: 1-line block ×28, first 2 shown]
	;;#ASMSTART
	v_cvt_off_f32_i4 v70, v20
	;;#ASMEND
	;;#ASMSTART
	v_cvt_off_f32_i4 v71, v21
	;;#ASMEND
	;; [unrolled: 3-line block ×31, first 2 shown]
	scratch_load_b128 v[16:19], off, s33 offset:352
	v_dual_mov_b32 v20, v100 :: v_dual_mov_b32 v21, v100
	v_dual_mov_b32 v22, v100 :: v_dual_mov_b32 v23, v100
	;; [unrolled: 1-line block ×4, first 2 shown]
	s_delay_alu instid0(VALU_DEP_4)
	v_cvt_pk_fp8_f32 v20, v28, v70
	v_cvt_pk_fp8_f32 v21, v71, v80
	;; [unrolled: 1-line block ×8, first 2 shown]
	v_cvt_pk_fp8_f32 v20, v81, v82 op_sel:[0,0,1]
	v_cvt_pk_fp8_f32 v21, v83, v84 op_sel:[0,0,1]
	;; [unrolled: 1-line block ×8, first 2 shown]
	s_clause 0x1
	scratch_store_b128 off, v[20:23], s33 offset:928
	scratch_store_b128 off, v[24:27], s33 offset:944
	s_wait_loadcnt 0x0
	;;#ASMSTART
	v_cvt_off_f32_i4 v33, v16
	;;#ASMEND
	v_ashrrev_i32_e32 v20, 16, v16
	v_ashrrev_i32_e32 v21, 8, v16
	;; [unrolled: 1-line block ×28, first 2 shown]
	;;#ASMSTART
	v_cvt_off_f32_i4 v70, v20
	;;#ASMEND
	;;#ASMSTART
	v_cvt_off_f32_i4 v71, v21
	;;#ASMEND
	;; [unrolled: 3-line block ×31, first 2 shown]
	scratch_load_b128 v[16:19], off, s33 offset:288
	v_dual_mov_b32 v20, v100 :: v_dual_mov_b32 v21, v100
	v_dual_mov_b32 v22, v100 :: v_dual_mov_b32 v23, v100
	;; [unrolled: 1-line block ×4, first 2 shown]
	s_delay_alu instid0(VALU_DEP_4)
	v_cvt_pk_fp8_f32 v20, v33, v70
	v_cvt_pk_fp8_f32 v21, v71, v80
	;; [unrolled: 1-line block ×8, first 2 shown]
	v_cvt_pk_fp8_f32 v20, v81, v82 op_sel:[0,0,1]
	v_cvt_pk_fp8_f32 v21, v83, v84 op_sel:[0,0,1]
	;; [unrolled: 1-line block ×8, first 2 shown]
	v_dual_mov_b32 v28, v100 :: v_dual_mov_b32 v29, v100
	v_dual_mov_b32 v30, v100 :: v_dual_mov_b32 v31, v100
	;; [unrolled: 1-line block ×4, first 2 shown]
	s_clause 0x1
	scratch_store_b128 off, v[20:23], s33 offset:864
	scratch_store_b128 off, v[24:27], s33 offset:880
	s_wait_loadcnt 0x0
	;;#ASMSTART
	v_cvt_off_f32_i4 v20, v16
	;;#ASMEND
	v_ashrrev_i32_e32 v21, 16, v16
	v_ashrrev_i32_e32 v22, 8, v16
	;; [unrolled: 1-line block ×28, first 2 shown]
	;;#ASMSTART
	v_cvt_off_f32_i4 v21, v21
	;;#ASMEND
	;;#ASMSTART
	v_cvt_off_f32_i4 v22, v22
	;;#ASMEND
	;; [unrolled: 3-line block ×27, first 2 shown]
	v_cvt_pk_fp8_f32 v28, v20, v21
	v_cvt_pk_fp8_f32 v29, v22, v23
	;; [unrolled: 1-line block ×8, first 2 shown]
	;;#ASMSTART
	v_cvt_off_f32_i4 v82, v82
	;;#ASMEND
	;;#ASMSTART
	v_cvt_off_f32_i4 v83, v83
	;;#ASMEND
	;;#ASMSTART
	v_cvt_off_f32_i4 v84, v84
	;;#ASMEND
	;;#ASMSTART
	v_cvt_off_f32_i4 v85, v85
	;;#ASMEND
	v_cvt_pk_fp8_f32 v28, v24, v25 op_sel:[0,0,1]
	v_cvt_pk_fp8_f32 v29, v26, v16 op_sel:[0,0,1]
	;; [unrolled: 1-line block ×8, first 2 shown]
	s_clause 0x1
	scratch_store_b128 off, v[28:31], s33 offset:800
	scratch_store_b128 off, v[32:35], s33 offset:816
	; sched_barrier mask(0x00000000)
	scratch_load_b128 v[48:51], off, s33 offset:768
	s_clause 0x1
	flat_load_b128 v[20:23], v[52:53] offset:144
	flat_load_b128 v[16:19], v[52:53] offset:128
	scratch_load_b128 v[66:69], off, s33 offset:832
	s_clause 0x1
	flat_load_b128 v[28:31], v[52:53] offset:176
	flat_load_b128 v[24:27], v[52:53] offset:160
	s_clause 0x2
	scratch_load_b128 v[96:99], off, s33 offset:784
	scratch_load_b128 v[112:115], off, s33 offset:848
	scratch_load_b128 v[116:119], off, s33 offset:896
	s_clause 0x1
	flat_load_b128 v[36:39], v[52:53] offset:208
	flat_load_b128 v[32:35], v[52:53] offset:192
	scratch_load_b128 v[128:131], off, s33 offset:960
	s_clause 0x1
	flat_load_b128 v[84:87], v[52:53] offset:240
	flat_load_b128 v[80:83], v[52:53] offset:224
	s_clause 0x2
	scratch_load_b128 v[132:135], off, s33 offset:912
	scratch_load_b128 v[144:147], off, s33 offset:976
	;; [unrolled: 1-line block ×3, first 2 shown]
	s_wait_loadcnt_dscnt 0xe06
	v_wmma_f32_16x16x16_fp8_fp8 v[16:23], v[12:13], v[48:49], v[16:23]
	s_wait_loadcnt_dscnt 0xb04
	v_wmma_f32_16x16x16_fp8_fp8 v[24:31], v[12:13], v[66:67], v[24:31]
	s_delay_alu instid0(VALU_DEP_2)
	v_wmma_f32_16x16x16_fp8_fp8 v[16:23], v[14:15], v[50:51], v[16:23]
	scratch_load_b128 v[48:51], off, s33 offset:864
	v_wmma_f32_16x16x16_fp8_fp8 v[24:31], v[14:15], v[68:69], v[24:31]
	scratch_load_b128 v[66:69], off, s33 offset:816
	s_wait_loadcnt 0xc
	v_wmma_f32_16x16x16_fp8_fp8 v[16:23], v[8:9], v[96:97], v[16:23]
	s_wait_loadcnt 0xb
	v_wmma_f32_16x16x16_fp8_fp8 v[24:31], v[8:9], v[112:113], v[24:31]
	s_delay_alu instid0(VALU_DEP_2)
	v_wmma_f32_16x16x16_fp8_fp8 v[16:23], v[10:11], v[98:99], v[16:23]
	scratch_load_b128 v[96:99], off, s33 offset:880
	v_wmma_f32_16x16x16_fp8_fp8 v[24:31], v[10:11], v[114:115], v[24:31]
	s_wait_loadcnt_dscnt 0x902
	v_wmma_f32_16x16x16_fp8_fp8 v[32:39], v[12:13], v[116:117], v[32:39]
	scratch_load_b128 v[112:115], off, s33 offset:928
	s_wait_loadcnt_dscnt 0x700
	v_wmma_f32_16x16x16_fp8_fp8 v[80:87], v[12:13], v[128:129], v[80:87]
	; sched_group_barrier mask(0x00000008) size(8) SyncID(0)
	; sched_group_barrier mask(0x00000100) size(1) SyncID(0)
	v_wmma_f32_16x16x16_fp8_fp8 v[32:39], v[14:15], v[118:119], v[32:39]
	scratch_load_b128 v[116:119], off, s33 offset:992
	v_wmma_f32_16x16x16_fp8_fp8 v[80:87], v[14:15], v[130:131], v[80:87]
	s_clause 0x1
	scratch_load_b128 v[12:15], off, s33 offset:944
	scratch_load_b128 v[128:131], off, s33 offset:1008
	s_wait_loadcnt 0x9
	v_wmma_f32_16x16x16_fp8_fp8 v[32:39], v[8:9], v[132:133], v[32:39]
	s_wait_loadcnt 0x8
	v_wmma_f32_16x16x16_fp8_fp8 v[80:87], v[8:9], v[144:145], v[80:87]
	s_delay_alu instid0(VALU_DEP_2) | instskip(NEXT) | instid1(VALU_DEP_2)
	v_wmma_f32_16x16x16_fp8_fp8 v[32:39], v[10:11], v[134:135], v[32:39]
	v_wmma_f32_16x16x16_fp8_fp8 v[80:87], v[10:11], v[146:147], v[80:87]
	s_wait_loadcnt 0x7
	v_wmma_f32_16x16x16_fp8_fp8 v[16:23], v[4:5], v[148:149], v[16:23]
	; sched_group_barrier mask(0x00000008) size(8) SyncID(0)
	; sched_group_barrier mask(0x00000100) size(1) SyncID(0)
	s_delay_alu instid0(VALU_DEP_1) | instskip(SKIP_3) | instid1(VALU_DEP_2)
	v_wmma_f32_16x16x16_fp8_fp8 v[16:23], v[6:7], v[150:151], v[16:23]
	s_wait_loadcnt 0x6
	v_wmma_f32_16x16x16_fp8_fp8 v[24:31], v[4:5], v[48:49], v[24:31]
	s_wait_loadcnt 0x5
	v_wmma_f32_16x16x16_fp8_fp8 v[16:23], v[0:1], v[66:67], v[16:23]
	s_delay_alu instid0(VALU_DEP_2)
	v_wmma_f32_16x16x16_fp8_fp8 v[24:31], v[6:7], v[50:51], v[24:31]
	scratch_load_b128 v[48:51], off, s33 offset:256
	v_wmma_f32_16x16x16_fp8_fp8 v[16:23], v[2:3], v[68:69], v[16:23]
	s_wait_loadcnt 0x5
	v_wmma_f32_16x16x16_fp8_fp8 v[24:31], v[0:1], v[96:97], v[24:31]
	s_clause 0x1
	flat_store_b128 v[52:53], v[16:19] offset:128
	flat_store_b128 v[52:53], v[20:23] offset:144
	v_wmma_f32_16x16x16_fp8_fp8 v[24:31], v[2:3], v[98:99], v[24:31]
	s_wait_loadcnt 0x4
	v_wmma_f32_16x16x16_fp8_fp8 v[32:39], v[4:5], v[112:113], v[32:39]
	; sched_group_barrier mask(0x00000008) size(8) SyncID(0)
	; sched_group_barrier mask(0x00000100) size(1) SyncID(0)
	s_wait_loadcnt 0x3
	v_wmma_f32_16x16x16_fp8_fp8 v[80:87], v[4:5], v[116:117], v[80:87]
	flat_store_b128 v[52:53], v[24:27] offset:160
	v_wmma_f32_16x16x16_fp8_fp8 v[32:39], v[6:7], v[114:115], v[32:39]
	flat_store_b128 v[52:53], v[28:31] offset:176
	v_wmma_f32_16x16x16_fp8_fp8 v[80:87], v[6:7], v[118:119], v[80:87]
	s_wait_loadcnt 0x2
	v_wmma_f32_16x16x16_fp8_fp8 v[32:39], v[0:1], v[12:13], v[32:39]
	s_wait_loadcnt 0x1
	s_delay_alu instid0(VALU_DEP_2) | instskip(NEXT) | instid1(VALU_DEP_2)
	v_wmma_f32_16x16x16_fp8_fp8 v[80:87], v[0:1], v[128:129], v[80:87]
	v_wmma_f32_16x16x16_fp8_fp8 v[32:39], v[2:3], v[14:15], v[32:39]
	s_delay_alu instid0(VALU_DEP_2)
	v_wmma_f32_16x16x16_fp8_fp8 v[80:87], v[2:3], v[130:131], v[80:87]
	; sched_group_barrier mask(0x00000008) size(8) SyncID(0)
	; sched_group_barrier mask(0x00000100) size(1) SyncID(0)
	s_clause 0x3
	flat_store_b128 v[52:53], v[36:39] offset:208
	flat_store_b128 v[52:53], v[32:35] offset:192
	;; [unrolled: 1-line block ×4, first 2 shown]
	s_clause 0x3
	flat_load_b64 v[7:8], v[64:65] offset:1148
	flat_load_b64 v[9:10], v[64:65] offset:1164
	flat_load_b128 v[0:3], v[64:65] offset:1176
	flat_load_b96 v[4:6], v[64:65] offset:1132
	flat_load_b64 v[11:12], v[54:55] offset:16
	s_wait_loadcnt 0x5
	v_ashrrev_i32_e32 v18, 16, v48
	v_ashrrev_i32_e32 v19, 8, v48
	;; [unrolled: 1-line block ×27, first 2 shown]
	s_wait_loadcnt_dscnt 0x303
	v_sub_nc_u32_e32 v7, v7, v10
	s_wait_loadcnt_dscnt 0x202
	v_add_nc_u32_e32 v13, 16, v3
	v_add_nc_u32_e32 v0, v9, v0
	v_sub_nc_u32_e32 v10, v8, v9
	s_wait_loadcnt_dscnt 0x101
	v_sub_nc_u32_e32 v2, v4, v2
	v_add3_u32 v1, v7, v1, 64
	v_add_nc_u32_e32 v7, 64, v3
	v_add_nc_u32_e32 v3, 0x50, v3
	v_ashrrev_i32_e32 v9, 31, v13
	v_sub_nc_u32_e32 v0, v8, v0
	v_ashrrev_i32_e32 v8, 31, v1
	v_ashrrev_i32_e32 v14, 31, v7
	;; [unrolled: 1-line block ×3, first 2 shown]
	v_lshrrev_b32_e32 v9, 28, v9
	v_sub_nc_u32_e32 v6, v1, v6
	v_lshrrev_b32_e32 v8, 29, v8
	v_lshrrev_b32_e32 v14, 28, v14
	v_lshrrev_b32_e32 v15, 28, v15
	v_add_nc_u32_e32 v9, v13, v9
	v_lshlrev_b32_e32 v6, 7, v6
	v_add_nc_u32_e32 v8, v1, v8
	v_add_nc_u32_e32 v14, v7, v14
	;; [unrolled: 1-line block ×3, first 2 shown]
	v_lshrrev_b32_e32 v16, 4, v9
	v_and_b32_e32 v9, -16, v9
	v_and_b32_e32 v8, -8, v8
	v_lshrrev_b32_e32 v17, 4, v14
	v_lshrrev_b32_e32 v70, 4, v15
	v_and_b32_e32 v14, -16, v14
	v_sub_nc_u32_e32 v9, v13, v9
	v_sub_nc_u32_e32 v1, v1, v8
	v_and_b32_e32 v8, -16, v15
	v_add_nc_u32_e32 v15, v16, v0
	v_add_nc_u32_e32 v16, v17, v0
	;; [unrolled: 1-line block ×3, first 2 shown]
	v_xor_b32_e32 v10, v1, v10
	v_add_nc_u32_e32 v2, v2, v6
	v_xor_b32_e32 v13, v15, v1
	v_xor_b32_e32 v15, v16, v1
	;; [unrolled: 1-line block ×3, first 2 shown]
	v_sub_nc_u32_e32 v1, v10, v5
	v_sub_nc_u32_e32 v7, v7, v14
	;; [unrolled: 1-line block ×5, first 2 shown]
	v_lshlrev_b32_e32 v1, 4, v1
	v_sub_nc_u32_e32 v3, v3, v8
	v_lshlrev_b32_e32 v5, 4, v10
	v_lshlrev_b32_e32 v8, 4, v13
	;; [unrolled: 1-line block ×3, first 2 shown]
	v_add3_u32 v1, v6, v4, v1
	v_ashrrev_i32_e32 v70, 12, v51
	v_add3_u32 v4, v9, v2, v5
	v_add3_u32 v5, v7, v2, v8
	;; [unrolled: 1-line block ×3, first 2 shown]
	v_ashrrev_i32_e32 v6, 31, v1
	s_wait_loadcnt_dscnt 0x0
	v_add_co_u32 v0, vcc_lo, v11, v1
	v_ashrrev_i32_e32 v7, 31, v4
	v_ashrrev_i32_e32 v8, 31, v5
	;; [unrolled: 1-line block ×3, first 2 shown]
	v_add_co_u32 v2, s0, v11, v4
	v_add_co_u32 v4, s1, v11, v5
	v_add_co_u32 v16, s2, v11, v3
	s_wait_alu 0xfffd
	v_add_co_ci_u32_e64 v1, null, v12, v6, vcc_lo
	s_wait_alu 0xf1ff
	v_add_co_ci_u32_e64 v3, null, v12, v7, s0
	v_add_co_ci_u32_e64 v5, null, v12, v8, s1
	;; [unrolled: 1-line block ×3, first 2 shown]
	s_clause 0x3
	flat_load_b128 v[12:15], v[0:1]
	flat_load_b128 v[8:11], v[2:3]
	;; [unrolled: 1-line block ×4, first 2 shown]
	;;#ASMSTART
	v_cvt_off_f32_i4 v48, v48
	;;#ASMEND
	;;#ASMSTART
	v_cvt_off_f32_i4 v80, v18
	;;#ASMEND
	;; [unrolled: 3-line block ×32, first 2 shown]
	scratch_load_b128 v[16:19], off, s33 offset:320
	v_dual_mov_b32 v20, v100 :: v_dual_mov_b32 v21, v100
	v_dual_mov_b32 v22, v100 :: v_dual_mov_b32 v23, v100
	;; [unrolled: 1-line block ×4, first 2 shown]
	s_delay_alu instid0(VALU_DEP_4)
	v_cvt_pk_fp8_f32 v20, v48, v80
	v_cvt_pk_fp8_f32 v21, v81, v82
	v_cvt_pk_fp8_f32 v22, v49, v87
	v_cvt_pk_fp8_f32 v23, v96, v97
	v_cvt_pk_fp8_f32 v24, v50, v32
	v_cvt_pk_fp8_f32 v25, v33, v34
	v_cvt_pk_fp8_f32 v26, v51, v39
	v_cvt_pk_fp8_f32 v27, v66, v67
	v_cvt_pk_fp8_f32 v20, v83, v84 op_sel:[0,0,1]
	v_cvt_pk_fp8_f32 v21, v85, v86 op_sel:[0,0,1]
	;; [unrolled: 1-line block ×8, first 2 shown]
	s_clause 0x1
	scratch_store_b128 off, v[20:23], s33 offset:768
	scratch_store_b128 off, v[24:27], s33 offset:784
	s_wait_loadcnt 0x0
	;;#ASMSTART
	v_cvt_off_f32_i4 v28, v16
	;;#ASMEND
	v_ashrrev_i32_e32 v20, 16, v16
	v_ashrrev_i32_e32 v21, 8, v16
	;; [unrolled: 1-line block ×28, first 2 shown]
	;;#ASMSTART
	v_cvt_off_f32_i4 v70, v20
	;;#ASMEND
	;;#ASMSTART
	v_cvt_off_f32_i4 v71, v21
	;;#ASMEND
	;;#ASMSTART
	v_cvt_off_f32_i4 v80, v22
	;;#ASMEND
	;;#ASMSTART
	v_cvt_off_f32_i4 v81, v23
	;;#ASMEND
	;;#ASMSTART
	v_cvt_off_f32_i4 v82, v24
	;;#ASMEND
	;;#ASMSTART
	v_cvt_off_f32_i4 v83, v25
	;;#ASMEND
	;;#ASMSTART
	v_cvt_off_f32_i4 v84, v16
	;;#ASMEND
	;;#ASMSTART
	v_cvt_off_f32_i4 v85, v17
	;;#ASMEND
	;;#ASMSTART
	v_cvt_off_f32_i4 v86, v26
	;;#ASMEND
	;;#ASMSTART
	v_cvt_off_f32_i4 v87, v27
	;;#ASMEND
	;;#ASMSTART
	v_cvt_off_f32_i4 v29, v29
	;;#ASMEND
	;;#ASMSTART
	v_cvt_off_f32_i4 v30, v30
	;;#ASMEND
	;;#ASMSTART
	v_cvt_off_f32_i4 v31, v31
	;;#ASMEND
	;;#ASMSTART
	v_cvt_off_f32_i4 v32, v32
	;;#ASMEND
	;;#ASMSTART
	v_cvt_off_f32_i4 v33, v33
	;;#ASMEND
	;;#ASMSTART
	v_cvt_off_f32_i4 v96, v18
	;;#ASMEND
	;;#ASMSTART
	v_cvt_off_f32_i4 v34, v34
	;;#ASMEND
	;;#ASMSTART
	v_cvt_off_f32_i4 v35, v35
	;;#ASMEND
	;;#ASMSTART
	v_cvt_off_f32_i4 v36, v36
	;;#ASMEND
	;;#ASMSTART
	v_cvt_off_f32_i4 v37, v37
	;;#ASMEND
	;;#ASMSTART
	v_cvt_off_f32_i4 v38, v38
	;;#ASMEND
	;;#ASMSTART
	v_cvt_off_f32_i4 v39, v39
	;;#ASMEND
	;;#ASMSTART
	v_cvt_off_f32_i4 v48, v48
	;;#ASMEND
	;;#ASMSTART
	v_cvt_off_f32_i4 v97, v19
	;;#ASMEND
	;;#ASMSTART
	v_cvt_off_f32_i4 v49, v49
	;;#ASMEND
	;;#ASMSTART
	v_cvt_off_f32_i4 v50, v50
	;;#ASMEND
	;;#ASMSTART
	v_cvt_off_f32_i4 v51, v51
	;;#ASMEND
	;;#ASMSTART
	v_cvt_off_f32_i4 v66, v66
	;;#ASMEND
	;;#ASMSTART
	v_cvt_off_f32_i4 v67, v67
	;;#ASMEND
	;;#ASMSTART
	v_cvt_off_f32_i4 v68, v68
	;;#ASMEND
	;;#ASMSTART
	v_cvt_off_f32_i4 v69, v69
	;;#ASMEND
	scratch_load_b128 v[16:19], off, s33 offset:384
	v_dual_mov_b32 v20, v100 :: v_dual_mov_b32 v21, v100
	v_dual_mov_b32 v22, v100 :: v_dual_mov_b32 v23, v100
	;; [unrolled: 1-line block ×4, first 2 shown]
	s_delay_alu instid0(VALU_DEP_4)
	v_cvt_pk_fp8_f32 v20, v28, v70
	v_cvt_pk_fp8_f32 v21, v71, v80
	;; [unrolled: 1-line block ×8, first 2 shown]
	v_cvt_pk_fp8_f32 v20, v81, v82 op_sel:[0,0,1]
	v_cvt_pk_fp8_f32 v21, v83, v84 op_sel:[0,0,1]
	;; [unrolled: 1-line block ×8, first 2 shown]
	s_clause 0x1
	scratch_store_b128 off, v[20:23], s33 offset:832
	scratch_store_b128 off, v[24:27], s33 offset:848
	s_wait_loadcnt 0x0
	;;#ASMSTART
	v_cvt_off_f32_i4 v28, v16
	;;#ASMEND
	v_ashrrev_i32_e32 v20, 16, v16
	v_ashrrev_i32_e32 v21, 8, v16
	;; [unrolled: 1-line block ×28, first 2 shown]
	;;#ASMSTART
	v_cvt_off_f32_i4 v70, v20
	;;#ASMEND
	;;#ASMSTART
	v_cvt_off_f32_i4 v71, v21
	;;#ASMEND
	;; [unrolled: 3-line block ×31, first 2 shown]
	scratch_load_b128 v[16:19], off, s33 offset:448
	v_dual_mov_b32 v20, v100 :: v_dual_mov_b32 v21, v100
	v_dual_mov_b32 v22, v100 :: v_dual_mov_b32 v23, v100
	;; [unrolled: 1-line block ×4, first 2 shown]
	s_delay_alu instid0(VALU_DEP_4)
	v_cvt_pk_fp8_f32 v20, v28, v70
	v_cvt_pk_fp8_f32 v21, v71, v80
	;; [unrolled: 1-line block ×8, first 2 shown]
	v_cvt_pk_fp8_f32 v20, v81, v82 op_sel:[0,0,1]
	v_cvt_pk_fp8_f32 v21, v83, v84 op_sel:[0,0,1]
	;; [unrolled: 1-line block ×8, first 2 shown]
	s_clause 0x1
	scratch_store_b128 off, v[20:23], s33 offset:896
	scratch_store_b128 off, v[24:27], s33 offset:912
	s_wait_loadcnt 0x0
	;;#ASMSTART
	v_cvt_off_f32_i4 v28, v16
	;;#ASMEND
	v_ashrrev_i32_e32 v20, 16, v16
	v_ashrrev_i32_e32 v21, 8, v16
	;; [unrolled: 1-line block ×28, first 2 shown]
	;;#ASMSTART
	v_cvt_off_f32_i4 v70, v20
	;;#ASMEND
	;;#ASMSTART
	v_cvt_off_f32_i4 v71, v21
	;;#ASMEND
	;; [unrolled: 3-line block ×31, first 2 shown]
	scratch_load_b128 v[16:19], off, s33 offset:480
	v_dual_mov_b32 v20, v100 :: v_dual_mov_b32 v21, v100
	v_dual_mov_b32 v22, v100 :: v_dual_mov_b32 v23, v100
	;; [unrolled: 1-line block ×4, first 2 shown]
	s_delay_alu instid0(VALU_DEP_4)
	v_cvt_pk_fp8_f32 v20, v28, v70
	v_cvt_pk_fp8_f32 v21, v71, v80
	;; [unrolled: 1-line block ×8, first 2 shown]
	v_cvt_pk_fp8_f32 v20, v81, v82 op_sel:[0,0,1]
	v_cvt_pk_fp8_f32 v21, v83, v84 op_sel:[0,0,1]
	;; [unrolled: 1-line block ×8, first 2 shown]
	s_clause 0x1
	scratch_store_b128 off, v[20:23], s33 offset:960
	scratch_store_b128 off, v[24:27], s33 offset:976
	s_wait_loadcnt 0x0
	;;#ASMSTART
	v_cvt_off_f32_i4 v28, v16
	;;#ASMEND
	v_ashrrev_i32_e32 v20, 16, v16
	v_ashrrev_i32_e32 v21, 8, v16
	;; [unrolled: 1-line block ×28, first 2 shown]
	;;#ASMSTART
	v_cvt_off_f32_i4 v70, v20
	;;#ASMEND
	;;#ASMSTART
	v_cvt_off_f32_i4 v71, v21
	;;#ASMEND
	;; [unrolled: 3-line block ×31, first 2 shown]
	scratch_load_b128 v[16:19], off, s33 offset:416
	v_dual_mov_b32 v20, v100 :: v_dual_mov_b32 v21, v100
	v_dual_mov_b32 v22, v100 :: v_dual_mov_b32 v23, v100
	;; [unrolled: 1-line block ×4, first 2 shown]
	s_delay_alu instid0(VALU_DEP_4)
	v_cvt_pk_fp8_f32 v20, v28, v70
	v_cvt_pk_fp8_f32 v21, v71, v80
	v_cvt_pk_fp8_f32 v22, v85, v86
	v_cvt_pk_fp8_f32 v23, v87, v29
	v_cvt_pk_fp8_f32 v24, v96, v34
	v_cvt_pk_fp8_f32 v25, v35, v36
	v_cvt_pk_fp8_f32 v26, v97, v49
	v_cvt_pk_fp8_f32 v27, v50, v51
	v_cvt_pk_fp8_f32 v20, v81, v82 op_sel:[0,0,1]
	v_cvt_pk_fp8_f32 v21, v83, v84 op_sel:[0,0,1]
	v_cvt_pk_fp8_f32 v22, v30, v31 op_sel:[0,0,1]
	v_cvt_pk_fp8_f32 v23, v32, v33 op_sel:[0,0,1]
	v_cvt_pk_fp8_f32 v24, v37, v38 op_sel:[0,0,1]
	v_cvt_pk_fp8_f32 v25, v39, v48 op_sel:[0,0,1]
	v_cvt_pk_fp8_f32 v26, v66, v67 op_sel:[0,0,1]
	v_cvt_pk_fp8_f32 v27, v68, v69 op_sel:[0,0,1]
	s_clause 0x1
	scratch_store_b128 off, v[20:23], s33 offset:992
	scratch_store_b128 off, v[24:27], s33 offset:1008
	s_wait_loadcnt 0x0
	;;#ASMSTART
	v_cvt_off_f32_i4 v28, v16
	;;#ASMEND
	v_ashrrev_i32_e32 v20, 16, v16
	v_ashrrev_i32_e32 v21, 8, v16
	;; [unrolled: 1-line block ×28, first 2 shown]
	;;#ASMSTART
	v_cvt_off_f32_i4 v70, v20
	;;#ASMEND
	;;#ASMSTART
	v_cvt_off_f32_i4 v71, v21
	;;#ASMEND
	;; [unrolled: 3-line block ×31, first 2 shown]
	scratch_load_b128 v[16:19], off, s33 offset:352
	v_dual_mov_b32 v20, v100 :: v_dual_mov_b32 v21, v100
	v_dual_mov_b32 v22, v100 :: v_dual_mov_b32 v23, v100
	;; [unrolled: 1-line block ×4, first 2 shown]
	s_delay_alu instid0(VALU_DEP_4)
	v_cvt_pk_fp8_f32 v20, v28, v70
	v_cvt_pk_fp8_f32 v21, v71, v80
	;; [unrolled: 1-line block ×8, first 2 shown]
	v_cvt_pk_fp8_f32 v20, v81, v82 op_sel:[0,0,1]
	v_cvt_pk_fp8_f32 v21, v83, v84 op_sel:[0,0,1]
	;; [unrolled: 1-line block ×8, first 2 shown]
	s_clause 0x1
	scratch_store_b128 off, v[20:23], s33 offset:928
	scratch_store_b128 off, v[24:27], s33 offset:944
	s_wait_loadcnt 0x0
	;;#ASMSTART
	v_cvt_off_f32_i4 v33, v16
	;;#ASMEND
	v_ashrrev_i32_e32 v20, 16, v16
	v_ashrrev_i32_e32 v21, 8, v16
	;; [unrolled: 1-line block ×28, first 2 shown]
	;;#ASMSTART
	v_cvt_off_f32_i4 v70, v20
	;;#ASMEND
	;;#ASMSTART
	v_cvt_off_f32_i4 v71, v21
	;;#ASMEND
	;; [unrolled: 3-line block ×31, first 2 shown]
	scratch_load_b128 v[16:19], off, s33 offset:288
	v_dual_mov_b32 v20, v100 :: v_dual_mov_b32 v21, v100
	v_dual_mov_b32 v22, v100 :: v_dual_mov_b32 v23, v100
	;; [unrolled: 1-line block ×4, first 2 shown]
	s_delay_alu instid0(VALU_DEP_4)
	v_cvt_pk_fp8_f32 v20, v33, v70
	v_cvt_pk_fp8_f32 v21, v71, v80
	;; [unrolled: 1-line block ×8, first 2 shown]
	v_cvt_pk_fp8_f32 v20, v81, v82 op_sel:[0,0,1]
	v_cvt_pk_fp8_f32 v21, v83, v84 op_sel:[0,0,1]
	;; [unrolled: 1-line block ×8, first 2 shown]
	v_dual_mov_b32 v28, v100 :: v_dual_mov_b32 v29, v100
	v_dual_mov_b32 v30, v100 :: v_dual_mov_b32 v31, v100
	;; [unrolled: 1-line block ×4, first 2 shown]
	s_clause 0x1
	scratch_store_b128 off, v[20:23], s33 offset:864
	scratch_store_b128 off, v[24:27], s33 offset:880
	s_wait_loadcnt 0x0
	;;#ASMSTART
	v_cvt_off_f32_i4 v20, v16
	;;#ASMEND
	v_ashrrev_i32_e32 v21, 16, v16
	v_ashrrev_i32_e32 v22, 8, v16
	;; [unrolled: 1-line block ×28, first 2 shown]
	;;#ASMSTART
	v_cvt_off_f32_i4 v21, v21
	;;#ASMEND
	;;#ASMSTART
	v_cvt_off_f32_i4 v22, v22
	;;#ASMEND
	;; [unrolled: 3-line block ×27, first 2 shown]
	v_cvt_pk_fp8_f32 v28, v20, v21
	v_cvt_pk_fp8_f32 v29, v22, v23
	;; [unrolled: 1-line block ×8, first 2 shown]
	;;#ASMSTART
	v_cvt_off_f32_i4 v82, v82
	;;#ASMEND
	;;#ASMSTART
	v_cvt_off_f32_i4 v83, v83
	;;#ASMEND
	;; [unrolled: 3-line block ×4, first 2 shown]
	v_cvt_pk_fp8_f32 v28, v24, v25 op_sel:[0,0,1]
	v_cvt_pk_fp8_f32 v29, v26, v16 op_sel:[0,0,1]
	;; [unrolled: 1-line block ×8, first 2 shown]
	s_clause 0x1
	scratch_store_b128 off, v[28:31], s33 offset:800
	scratch_store_b128 off, v[32:35], s33 offset:816
	; sched_barrier mask(0x00000000)
	scratch_load_b128 v[48:51], off, s33 offset:768
	s_clause 0x1
	flat_load_b128 v[20:23], v[52:53] offset:272
	flat_load_b128 v[16:19], v[52:53] offset:256
	scratch_load_b128 v[66:69], off, s33 offset:832
	s_clause 0x1
	flat_load_b128 v[28:31], v[52:53] offset:304
	flat_load_b128 v[24:27], v[52:53] offset:288
	s_clause 0x2
	scratch_load_b128 v[96:99], off, s33 offset:784
	scratch_load_b128 v[112:115], off, s33 offset:848
	;; [unrolled: 1-line block ×3, first 2 shown]
	s_clause 0x1
	flat_load_b128 v[36:39], v[52:53] offset:336
	flat_load_b128 v[32:35], v[52:53] offset:320
	scratch_load_b128 v[128:131], off, s33 offset:960
	s_clause 0x1
	flat_load_b128 v[84:87], v[52:53] offset:368
	flat_load_b128 v[80:83], v[52:53] offset:352
	s_clause 0x2
	scratch_load_b128 v[132:135], off, s33 offset:912
	scratch_load_b128 v[144:147], off, s33 offset:976
	;; [unrolled: 1-line block ×3, first 2 shown]
	s_wait_loadcnt_dscnt 0xe06
	v_wmma_f32_16x16x16_fp8_fp8 v[16:23], v[12:13], v[48:49], v[16:23]
	s_wait_loadcnt_dscnt 0xb04
	v_wmma_f32_16x16x16_fp8_fp8 v[24:31], v[12:13], v[66:67], v[24:31]
	s_delay_alu instid0(VALU_DEP_2)
	v_wmma_f32_16x16x16_fp8_fp8 v[16:23], v[14:15], v[50:51], v[16:23]
	scratch_load_b128 v[48:51], off, s33 offset:864
	v_wmma_f32_16x16x16_fp8_fp8 v[24:31], v[14:15], v[68:69], v[24:31]
	scratch_load_b128 v[66:69], off, s33 offset:816
	s_wait_loadcnt 0xc
	v_wmma_f32_16x16x16_fp8_fp8 v[16:23], v[8:9], v[96:97], v[16:23]
	s_wait_loadcnt 0xb
	v_wmma_f32_16x16x16_fp8_fp8 v[24:31], v[8:9], v[112:113], v[24:31]
	s_delay_alu instid0(VALU_DEP_2)
	v_wmma_f32_16x16x16_fp8_fp8 v[16:23], v[10:11], v[98:99], v[16:23]
	scratch_load_b128 v[96:99], off, s33 offset:880
	v_wmma_f32_16x16x16_fp8_fp8 v[24:31], v[10:11], v[114:115], v[24:31]
	s_wait_loadcnt_dscnt 0x902
	v_wmma_f32_16x16x16_fp8_fp8 v[32:39], v[12:13], v[116:117], v[32:39]
	scratch_load_b128 v[112:115], off, s33 offset:928
	s_wait_loadcnt_dscnt 0x700
	v_wmma_f32_16x16x16_fp8_fp8 v[80:87], v[12:13], v[128:129], v[80:87]
	; sched_group_barrier mask(0x00000008) size(8) SyncID(0)
	; sched_group_barrier mask(0x00000100) size(1) SyncID(0)
	v_wmma_f32_16x16x16_fp8_fp8 v[32:39], v[14:15], v[118:119], v[32:39]
	scratch_load_b128 v[116:119], off, s33 offset:992
	v_wmma_f32_16x16x16_fp8_fp8 v[80:87], v[14:15], v[130:131], v[80:87]
	s_clause 0x1
	scratch_load_b128 v[12:15], off, s33 offset:944
	scratch_load_b128 v[128:131], off, s33 offset:1008
	s_wait_loadcnt 0x9
	v_wmma_f32_16x16x16_fp8_fp8 v[32:39], v[8:9], v[132:133], v[32:39]
	s_wait_loadcnt 0x8
	v_wmma_f32_16x16x16_fp8_fp8 v[80:87], v[8:9], v[144:145], v[80:87]
	s_delay_alu instid0(VALU_DEP_2) | instskip(NEXT) | instid1(VALU_DEP_2)
	v_wmma_f32_16x16x16_fp8_fp8 v[32:39], v[10:11], v[134:135], v[32:39]
	v_wmma_f32_16x16x16_fp8_fp8 v[80:87], v[10:11], v[146:147], v[80:87]
	s_wait_loadcnt 0x7
	v_wmma_f32_16x16x16_fp8_fp8 v[16:23], v[4:5], v[148:149], v[16:23]
	; sched_group_barrier mask(0x00000008) size(8) SyncID(0)
	; sched_group_barrier mask(0x00000100) size(1) SyncID(0)
	s_delay_alu instid0(VALU_DEP_1) | instskip(SKIP_3) | instid1(VALU_DEP_2)
	v_wmma_f32_16x16x16_fp8_fp8 v[16:23], v[6:7], v[150:151], v[16:23]
	s_wait_loadcnt 0x6
	v_wmma_f32_16x16x16_fp8_fp8 v[24:31], v[4:5], v[48:49], v[24:31]
	s_wait_loadcnt 0x5
	v_wmma_f32_16x16x16_fp8_fp8 v[16:23], v[0:1], v[66:67], v[16:23]
	s_delay_alu instid0(VALU_DEP_2)
	v_wmma_f32_16x16x16_fp8_fp8 v[24:31], v[6:7], v[50:51], v[24:31]
	scratch_load_b128 v[48:51], off, s33 offset:256
	v_wmma_f32_16x16x16_fp8_fp8 v[16:23], v[2:3], v[68:69], v[16:23]
	s_wait_loadcnt 0x5
	v_wmma_f32_16x16x16_fp8_fp8 v[24:31], v[0:1], v[96:97], v[24:31]
	s_clause 0x1
	flat_store_b128 v[52:53], v[16:19] offset:256
	flat_store_b128 v[52:53], v[20:23] offset:272
	v_wmma_f32_16x16x16_fp8_fp8 v[24:31], v[2:3], v[98:99], v[24:31]
	s_wait_loadcnt 0x4
	v_wmma_f32_16x16x16_fp8_fp8 v[32:39], v[4:5], v[112:113], v[32:39]
	; sched_group_barrier mask(0x00000008) size(8) SyncID(0)
	; sched_group_barrier mask(0x00000100) size(1) SyncID(0)
	s_wait_loadcnt 0x3
	v_wmma_f32_16x16x16_fp8_fp8 v[80:87], v[4:5], v[116:117], v[80:87]
	flat_store_b128 v[52:53], v[24:27] offset:288
	v_wmma_f32_16x16x16_fp8_fp8 v[32:39], v[6:7], v[114:115], v[32:39]
	flat_store_b128 v[52:53], v[28:31] offset:304
	v_wmma_f32_16x16x16_fp8_fp8 v[80:87], v[6:7], v[118:119], v[80:87]
	s_wait_loadcnt 0x2
	v_wmma_f32_16x16x16_fp8_fp8 v[32:39], v[0:1], v[12:13], v[32:39]
	s_wait_loadcnt 0x1
	s_delay_alu instid0(VALU_DEP_2) | instskip(NEXT) | instid1(VALU_DEP_2)
	v_wmma_f32_16x16x16_fp8_fp8 v[80:87], v[0:1], v[128:129], v[80:87]
	v_wmma_f32_16x16x16_fp8_fp8 v[32:39], v[2:3], v[14:15], v[32:39]
	s_delay_alu instid0(VALU_DEP_2)
	v_wmma_f32_16x16x16_fp8_fp8 v[80:87], v[2:3], v[130:131], v[80:87]
	; sched_group_barrier mask(0x00000008) size(8) SyncID(0)
	; sched_group_barrier mask(0x00000100) size(1) SyncID(0)
	s_clause 0x3
	flat_store_b128 v[52:53], v[36:39] offset:336
	flat_store_b128 v[52:53], v[32:35] offset:320
	;; [unrolled: 1-line block ×4, first 2 shown]
	s_clause 0x3
	flat_load_b64 v[7:8], v[64:65] offset:1148
	flat_load_b64 v[9:10], v[64:65] offset:1164
	flat_load_b128 v[0:3], v[64:65] offset:1176
	flat_load_b96 v[4:6], v[64:65] offset:1132
	flat_load_b64 v[11:12], v[54:55] offset:16
	s_wait_loadcnt 0x5
	v_ashrrev_i32_e32 v18, 16, v48
	v_ashrrev_i32_e32 v19, 8, v48
	;; [unrolled: 1-line block ×27, first 2 shown]
	s_wait_loadcnt_dscnt 0x303
	v_sub_nc_u32_e32 v7, v7, v10
	s_wait_loadcnt_dscnt 0x202
	v_add_nc_u32_e32 v13, 16, v3
	v_add_nc_u32_e32 v0, v9, v0
	v_sub_nc_u32_e32 v10, v8, v9
	s_wait_loadcnt_dscnt 0x101
	v_sub_nc_u32_e32 v2, v4, v2
	v_add3_u32 v1, v7, v1, 0x60
	v_add_nc_u32_e32 v7, 64, v3
	v_add_nc_u32_e32 v3, 0x50, v3
	v_ashrrev_i32_e32 v9, 31, v13
	v_sub_nc_u32_e32 v0, v8, v0
	v_ashrrev_i32_e32 v8, 31, v1
	v_ashrrev_i32_e32 v14, 31, v7
	;; [unrolled: 1-line block ×3, first 2 shown]
	v_lshrrev_b32_e32 v9, 28, v9
	v_sub_nc_u32_e32 v6, v1, v6
	v_lshrrev_b32_e32 v8, 29, v8
	v_lshrrev_b32_e32 v14, 28, v14
	v_lshrrev_b32_e32 v15, 28, v15
	v_add_nc_u32_e32 v9, v13, v9
	v_lshlrev_b32_e32 v6, 7, v6
	v_add_nc_u32_e32 v8, v1, v8
	v_add_nc_u32_e32 v14, v7, v14
	;; [unrolled: 1-line block ×3, first 2 shown]
	v_lshrrev_b32_e32 v16, 4, v9
	v_and_b32_e32 v9, -16, v9
	v_and_b32_e32 v8, -8, v8
	v_lshrrev_b32_e32 v17, 4, v14
	v_lshrrev_b32_e32 v70, 4, v15
	v_and_b32_e32 v14, -16, v14
	v_sub_nc_u32_e32 v9, v13, v9
	v_sub_nc_u32_e32 v1, v1, v8
	v_and_b32_e32 v8, -16, v15
	v_add_nc_u32_e32 v15, v16, v0
	v_add_nc_u32_e32 v16, v17, v0
	;; [unrolled: 1-line block ×3, first 2 shown]
	v_xor_b32_e32 v10, v1, v10
	v_add_nc_u32_e32 v2, v2, v6
	v_xor_b32_e32 v13, v15, v1
	v_xor_b32_e32 v15, v16, v1
	;; [unrolled: 1-line block ×3, first 2 shown]
	v_sub_nc_u32_e32 v1, v10, v5
	v_sub_nc_u32_e32 v7, v7, v14
	v_sub_nc_u32_e32 v10, v13, v5
	v_sub_nc_u32_e32 v13, v15, v5
	v_sub_nc_u32_e32 v0, v0, v5
	v_lshlrev_b32_e32 v1, 4, v1
	v_sub_nc_u32_e32 v3, v3, v8
	v_lshlrev_b32_e32 v5, 4, v10
	v_lshlrev_b32_e32 v8, 4, v13
	;; [unrolled: 1-line block ×3, first 2 shown]
	v_add3_u32 v1, v6, v4, v1
	v_ashrrev_i32_e32 v70, 12, v51
	v_add3_u32 v4, v9, v2, v5
	v_add3_u32 v5, v7, v2, v8
	v_add3_u32 v3, v3, v2, v0
	v_ashrrev_i32_e32 v6, 31, v1
	s_wait_loadcnt_dscnt 0x0
	v_add_co_u32 v0, vcc_lo, v11, v1
	v_ashrrev_i32_e32 v7, 31, v4
	v_ashrrev_i32_e32 v8, 31, v5
	;; [unrolled: 1-line block ×3, first 2 shown]
	v_add_co_u32 v2, s0, v11, v4
	v_add_co_u32 v4, s1, v11, v5
	;; [unrolled: 1-line block ×3, first 2 shown]
	s_wait_alu 0xfffd
	v_add_co_ci_u32_e64 v1, null, v12, v6, vcc_lo
	s_wait_alu 0xf1ff
	v_add_co_ci_u32_e64 v3, null, v12, v7, s0
	v_add_co_ci_u32_e64 v5, null, v12, v8, s1
	;; [unrolled: 1-line block ×3, first 2 shown]
	s_clause 0x3
	flat_load_b128 v[12:15], v[0:1]
	flat_load_b128 v[8:11], v[2:3]
	;; [unrolled: 1-line block ×4, first 2 shown]
	;;#ASMSTART
	v_cvt_off_f32_i4 v48, v48
	;;#ASMEND
	;;#ASMSTART
	v_cvt_off_f32_i4 v80, v18
	;;#ASMEND
	;; [unrolled: 3-line block ×32, first 2 shown]
	scratch_load_b128 v[16:19], off, s33 offset:320
	v_dual_mov_b32 v20, v100 :: v_dual_mov_b32 v21, v100
	v_dual_mov_b32 v22, v100 :: v_dual_mov_b32 v23, v100
	;; [unrolled: 1-line block ×4, first 2 shown]
	s_delay_alu instid0(VALU_DEP_4)
	v_cvt_pk_fp8_f32 v20, v48, v80
	v_cvt_pk_fp8_f32 v21, v81, v82
	;; [unrolled: 1-line block ×8, first 2 shown]
	v_cvt_pk_fp8_f32 v20, v83, v84 op_sel:[0,0,1]
	v_cvt_pk_fp8_f32 v21, v85, v86 op_sel:[0,0,1]
	;; [unrolled: 1-line block ×8, first 2 shown]
	s_clause 0x1
	scratch_store_b128 off, v[20:23], s33 offset:768
	scratch_store_b128 off, v[24:27], s33 offset:784
	s_wait_loadcnt 0x0
	;;#ASMSTART
	v_cvt_off_f32_i4 v28, v16
	;;#ASMEND
	v_ashrrev_i32_e32 v20, 16, v16
	v_ashrrev_i32_e32 v21, 8, v16
	;; [unrolled: 1-line block ×28, first 2 shown]
	;;#ASMSTART
	v_cvt_off_f32_i4 v70, v20
	;;#ASMEND
	;;#ASMSTART
	v_cvt_off_f32_i4 v71, v21
	;;#ASMEND
	;; [unrolled: 3-line block ×31, first 2 shown]
	scratch_load_b128 v[16:19], off, s33 offset:384
	v_dual_mov_b32 v20, v100 :: v_dual_mov_b32 v21, v100
	v_dual_mov_b32 v22, v100 :: v_dual_mov_b32 v23, v100
	;; [unrolled: 1-line block ×4, first 2 shown]
	s_delay_alu instid0(VALU_DEP_4)
	v_cvt_pk_fp8_f32 v20, v28, v70
	v_cvt_pk_fp8_f32 v21, v71, v80
	;; [unrolled: 1-line block ×8, first 2 shown]
	v_cvt_pk_fp8_f32 v20, v81, v82 op_sel:[0,0,1]
	v_cvt_pk_fp8_f32 v21, v83, v84 op_sel:[0,0,1]
	;; [unrolled: 1-line block ×8, first 2 shown]
	s_clause 0x1
	scratch_store_b128 off, v[20:23], s33 offset:832
	scratch_store_b128 off, v[24:27], s33 offset:848
	s_wait_loadcnt 0x0
	;;#ASMSTART
	v_cvt_off_f32_i4 v28, v16
	;;#ASMEND
	v_ashrrev_i32_e32 v20, 16, v16
	v_ashrrev_i32_e32 v21, 8, v16
	;; [unrolled: 1-line block ×28, first 2 shown]
	;;#ASMSTART
	v_cvt_off_f32_i4 v70, v20
	;;#ASMEND
	;;#ASMSTART
	v_cvt_off_f32_i4 v71, v21
	;;#ASMEND
	;; [unrolled: 3-line block ×31, first 2 shown]
	scratch_load_b128 v[16:19], off, s33 offset:448
	v_dual_mov_b32 v20, v100 :: v_dual_mov_b32 v21, v100
	v_dual_mov_b32 v22, v100 :: v_dual_mov_b32 v23, v100
	v_dual_mov_b32 v24, v100 :: v_dual_mov_b32 v25, v100
	v_dual_mov_b32 v26, v100 :: v_dual_mov_b32 v27, v100
	s_delay_alu instid0(VALU_DEP_4)
	v_cvt_pk_fp8_f32 v20, v28, v70
	v_cvt_pk_fp8_f32 v21, v71, v80
	v_cvt_pk_fp8_f32 v22, v85, v86
	v_cvt_pk_fp8_f32 v23, v87, v29
	v_cvt_pk_fp8_f32 v24, v96, v34
	v_cvt_pk_fp8_f32 v25, v35, v36
	v_cvt_pk_fp8_f32 v26, v97, v49
	v_cvt_pk_fp8_f32 v27, v50, v51
	v_cvt_pk_fp8_f32 v20, v81, v82 op_sel:[0,0,1]
	v_cvt_pk_fp8_f32 v21, v83, v84 op_sel:[0,0,1]
	;; [unrolled: 1-line block ×8, first 2 shown]
	s_clause 0x1
	scratch_store_b128 off, v[20:23], s33 offset:896
	scratch_store_b128 off, v[24:27], s33 offset:912
	s_wait_loadcnt 0x0
	;;#ASMSTART
	v_cvt_off_f32_i4 v28, v16
	;;#ASMEND
	v_ashrrev_i32_e32 v20, 16, v16
	v_ashrrev_i32_e32 v21, 8, v16
	;; [unrolled: 1-line block ×28, first 2 shown]
	;;#ASMSTART
	v_cvt_off_f32_i4 v70, v20
	;;#ASMEND
	;;#ASMSTART
	v_cvt_off_f32_i4 v71, v21
	;;#ASMEND
	;; [unrolled: 3-line block ×31, first 2 shown]
	scratch_load_b128 v[16:19], off, s33 offset:480
	v_dual_mov_b32 v20, v100 :: v_dual_mov_b32 v21, v100
	v_dual_mov_b32 v22, v100 :: v_dual_mov_b32 v23, v100
	;; [unrolled: 1-line block ×4, first 2 shown]
	s_delay_alu instid0(VALU_DEP_4)
	v_cvt_pk_fp8_f32 v20, v28, v70
	v_cvt_pk_fp8_f32 v21, v71, v80
	v_cvt_pk_fp8_f32 v22, v85, v86
	v_cvt_pk_fp8_f32 v23, v87, v29
	v_cvt_pk_fp8_f32 v24, v96, v34
	v_cvt_pk_fp8_f32 v25, v35, v36
	v_cvt_pk_fp8_f32 v26, v97, v49
	v_cvt_pk_fp8_f32 v27, v50, v51
	v_cvt_pk_fp8_f32 v20, v81, v82 op_sel:[0,0,1]
	v_cvt_pk_fp8_f32 v21, v83, v84 op_sel:[0,0,1]
	;; [unrolled: 1-line block ×8, first 2 shown]
	s_clause 0x1
	scratch_store_b128 off, v[20:23], s33 offset:960
	scratch_store_b128 off, v[24:27], s33 offset:976
	s_wait_loadcnt 0x0
	;;#ASMSTART
	v_cvt_off_f32_i4 v28, v16
	;;#ASMEND
	v_ashrrev_i32_e32 v20, 16, v16
	v_ashrrev_i32_e32 v21, 8, v16
	;; [unrolled: 1-line block ×28, first 2 shown]
	;;#ASMSTART
	v_cvt_off_f32_i4 v70, v20
	;;#ASMEND
	;;#ASMSTART
	v_cvt_off_f32_i4 v71, v21
	;;#ASMEND
	;; [unrolled: 3-line block ×31, first 2 shown]
	scratch_load_b128 v[16:19], off, s33 offset:416
	v_dual_mov_b32 v20, v100 :: v_dual_mov_b32 v21, v100
	v_dual_mov_b32 v22, v100 :: v_dual_mov_b32 v23, v100
	;; [unrolled: 1-line block ×4, first 2 shown]
	s_delay_alu instid0(VALU_DEP_4)
	v_cvt_pk_fp8_f32 v20, v28, v70
	v_cvt_pk_fp8_f32 v21, v71, v80
	;; [unrolled: 1-line block ×8, first 2 shown]
	v_cvt_pk_fp8_f32 v20, v81, v82 op_sel:[0,0,1]
	v_cvt_pk_fp8_f32 v21, v83, v84 op_sel:[0,0,1]
	;; [unrolled: 1-line block ×8, first 2 shown]
	s_clause 0x1
	scratch_store_b128 off, v[20:23], s33 offset:992
	scratch_store_b128 off, v[24:27], s33 offset:1008
	s_wait_loadcnt 0x0
	;;#ASMSTART
	v_cvt_off_f32_i4 v28, v16
	;;#ASMEND
	v_ashrrev_i32_e32 v20, 16, v16
	v_ashrrev_i32_e32 v21, 8, v16
	;; [unrolled: 1-line block ×28, first 2 shown]
	;;#ASMSTART
	v_cvt_off_f32_i4 v70, v20
	;;#ASMEND
	;;#ASMSTART
	v_cvt_off_f32_i4 v71, v21
	;;#ASMEND
	;; [unrolled: 3-line block ×31, first 2 shown]
	scratch_load_b128 v[16:19], off, s33 offset:352
	v_dual_mov_b32 v20, v100 :: v_dual_mov_b32 v21, v100
	v_dual_mov_b32 v22, v100 :: v_dual_mov_b32 v23, v100
	;; [unrolled: 1-line block ×4, first 2 shown]
	s_delay_alu instid0(VALU_DEP_4)
	v_cvt_pk_fp8_f32 v20, v28, v70
	v_cvt_pk_fp8_f32 v21, v71, v80
	;; [unrolled: 1-line block ×8, first 2 shown]
	v_cvt_pk_fp8_f32 v20, v81, v82 op_sel:[0,0,1]
	v_cvt_pk_fp8_f32 v21, v83, v84 op_sel:[0,0,1]
	;; [unrolled: 1-line block ×8, first 2 shown]
	s_clause 0x1
	scratch_store_b128 off, v[20:23], s33 offset:928
	scratch_store_b128 off, v[24:27], s33 offset:944
	s_wait_loadcnt 0x0
	;;#ASMSTART
	v_cvt_off_f32_i4 v33, v16
	;;#ASMEND
	v_ashrrev_i32_e32 v20, 16, v16
	v_ashrrev_i32_e32 v21, 8, v16
	;; [unrolled: 1-line block ×28, first 2 shown]
	;;#ASMSTART
	v_cvt_off_f32_i4 v70, v20
	;;#ASMEND
	;;#ASMSTART
	v_cvt_off_f32_i4 v71, v21
	;;#ASMEND
	;; [unrolled: 3-line block ×31, first 2 shown]
	scratch_load_b128 v[16:19], off, s33 offset:288
	v_dual_mov_b32 v20, v100 :: v_dual_mov_b32 v21, v100
	v_dual_mov_b32 v22, v100 :: v_dual_mov_b32 v23, v100
	v_dual_mov_b32 v24, v100 :: v_dual_mov_b32 v25, v100
	v_dual_mov_b32 v26, v100 :: v_dual_mov_b32 v27, v100
	s_delay_alu instid0(VALU_DEP_4)
	v_cvt_pk_fp8_f32 v20, v33, v70
	v_cvt_pk_fp8_f32 v21, v71, v80
	;; [unrolled: 1-line block ×8, first 2 shown]
	v_cvt_pk_fp8_f32 v20, v81, v82 op_sel:[0,0,1]
	v_cvt_pk_fp8_f32 v21, v83, v84 op_sel:[0,0,1]
	v_cvt_pk_fp8_f32 v22, v97, v98 op_sel:[0,0,1]
	v_cvt_pk_fp8_f32 v23, v99, v101 op_sel:[0,0,1]
	v_cvt_pk_fp8_f32 v24, v37, v38 op_sel:[0,0,1]
	v_cvt_pk_fp8_f32 v25, v39, v48 op_sel:[0,0,1]
	v_cvt_pk_fp8_f32 v26, v66, v67 op_sel:[0,0,1]
	v_cvt_pk_fp8_f32 v27, v68, v69 op_sel:[0,0,1]
	v_dual_mov_b32 v28, v100 :: v_dual_mov_b32 v29, v100
	v_dual_mov_b32 v30, v100 :: v_dual_mov_b32 v31, v100
	;; [unrolled: 1-line block ×4, first 2 shown]
	s_clause 0x1
	scratch_store_b128 off, v[20:23], s33 offset:864
	scratch_store_b128 off, v[24:27], s33 offset:880
	s_wait_loadcnt 0x0
	;;#ASMSTART
	v_cvt_off_f32_i4 v20, v16
	;;#ASMEND
	v_ashrrev_i32_e32 v21, 16, v16
	v_ashrrev_i32_e32 v22, 8, v16
	;; [unrolled: 1-line block ×28, first 2 shown]
	;;#ASMSTART
	v_cvt_off_f32_i4 v21, v21
	;;#ASMEND
	;;#ASMSTART
	v_cvt_off_f32_i4 v22, v22
	;;#ASMEND
	;; [unrolled: 3-line block ×27, first 2 shown]
	v_cvt_pk_fp8_f32 v28, v20, v21
	v_cvt_pk_fp8_f32 v29, v22, v23
	;; [unrolled: 1-line block ×8, first 2 shown]
	;;#ASMSTART
	v_cvt_off_f32_i4 v82, v82
	;;#ASMEND
	;;#ASMSTART
	v_cvt_off_f32_i4 v83, v83
	;;#ASMEND
	;;#ASMSTART
	v_cvt_off_f32_i4 v84, v84
	;;#ASMEND
	;;#ASMSTART
	v_cvt_off_f32_i4 v85, v85
	;;#ASMEND
	v_cvt_pk_fp8_f32 v28, v24, v25 op_sel:[0,0,1]
	v_cvt_pk_fp8_f32 v29, v26, v16 op_sel:[0,0,1]
	;; [unrolled: 1-line block ×8, first 2 shown]
	s_clause 0x1
	scratch_store_b128 off, v[28:31], s33 offset:800
	scratch_store_b128 off, v[32:35], s33 offset:816
	; sched_barrier mask(0x00000000)
	scratch_load_b128 v[48:51], off, s33 offset:768
	s_clause 0x1
	flat_load_b128 v[20:23], v[52:53] offset:400
	flat_load_b128 v[16:19], v[52:53] offset:384
	scratch_load_b128 v[66:69], off, s33 offset:832
	s_clause 0x1
	flat_load_b128 v[28:31], v[52:53] offset:432
	flat_load_b128 v[24:27], v[52:53] offset:416
	s_clause 0x2
	scratch_load_b128 v[96:99], off, s33 offset:784
	scratch_load_b128 v[112:115], off, s33 offset:848
	;; [unrolled: 1-line block ×3, first 2 shown]
	s_clause 0x1
	flat_load_b128 v[36:39], v[52:53] offset:464
	flat_load_b128 v[32:35], v[52:53] offset:448
	scratch_load_b128 v[128:131], off, s33 offset:960
	s_clause 0x1
	flat_load_b128 v[84:87], v[52:53] offset:496
	flat_load_b128 v[80:83], v[52:53] offset:480
	s_clause 0x2
	scratch_load_b128 v[132:135], off, s33 offset:912
	scratch_load_b128 v[144:147], off, s33 offset:976
	;; [unrolled: 1-line block ×3, first 2 shown]
	s_wait_loadcnt_dscnt 0xe06
	v_wmma_f32_16x16x16_fp8_fp8 v[16:23], v[12:13], v[48:49], v[16:23]
	s_wait_loadcnt_dscnt 0xb04
	v_wmma_f32_16x16x16_fp8_fp8 v[24:31], v[12:13], v[66:67], v[24:31]
	s_delay_alu instid0(VALU_DEP_2)
	v_wmma_f32_16x16x16_fp8_fp8 v[16:23], v[14:15], v[50:51], v[16:23]
	scratch_load_b128 v[48:51], off, s33 offset:864
	v_wmma_f32_16x16x16_fp8_fp8 v[24:31], v[14:15], v[68:69], v[24:31]
	scratch_load_b128 v[66:69], off, s33 offset:816
	s_wait_loadcnt 0xc
	v_wmma_f32_16x16x16_fp8_fp8 v[16:23], v[8:9], v[96:97], v[16:23]
	s_wait_loadcnt 0xb
	v_wmma_f32_16x16x16_fp8_fp8 v[24:31], v[8:9], v[112:113], v[24:31]
	s_delay_alu instid0(VALU_DEP_2)
	v_wmma_f32_16x16x16_fp8_fp8 v[16:23], v[10:11], v[98:99], v[16:23]
	scratch_load_b128 v[96:99], off, s33 offset:880
	v_wmma_f32_16x16x16_fp8_fp8 v[24:31], v[10:11], v[114:115], v[24:31]
	s_wait_loadcnt_dscnt 0x902
	v_wmma_f32_16x16x16_fp8_fp8 v[32:39], v[12:13], v[116:117], v[32:39]
	scratch_load_b128 v[112:115], off, s33 offset:928
	s_wait_loadcnt_dscnt 0x700
	v_wmma_f32_16x16x16_fp8_fp8 v[80:87], v[12:13], v[128:129], v[80:87]
	; sched_group_barrier mask(0x00000008) size(8) SyncID(0)
	; sched_group_barrier mask(0x00000100) size(1) SyncID(0)
	v_wmma_f32_16x16x16_fp8_fp8 v[32:39], v[14:15], v[118:119], v[32:39]
	scratch_load_b128 v[116:119], off, s33 offset:992
	v_wmma_f32_16x16x16_fp8_fp8 v[80:87], v[14:15], v[130:131], v[80:87]
	s_clause 0x1
	scratch_load_b128 v[12:15], off, s33 offset:944
	scratch_load_b128 v[128:131], off, s33 offset:1008
	s_wait_loadcnt 0x9
	v_wmma_f32_16x16x16_fp8_fp8 v[32:39], v[8:9], v[132:133], v[32:39]
	s_wait_loadcnt 0x8
	v_wmma_f32_16x16x16_fp8_fp8 v[80:87], v[8:9], v[144:145], v[80:87]
	s_delay_alu instid0(VALU_DEP_2) | instskip(NEXT) | instid1(VALU_DEP_2)
	v_wmma_f32_16x16x16_fp8_fp8 v[32:39], v[10:11], v[134:135], v[32:39]
	v_wmma_f32_16x16x16_fp8_fp8 v[80:87], v[10:11], v[146:147], v[80:87]
	s_wait_loadcnt 0x7
	v_wmma_f32_16x16x16_fp8_fp8 v[16:23], v[4:5], v[148:149], v[16:23]
	; sched_group_barrier mask(0x00000008) size(8) SyncID(0)
	; sched_group_barrier mask(0x00000100) size(1) SyncID(0)
	s_delay_alu instid0(VALU_DEP_1) | instskip(SKIP_3) | instid1(VALU_DEP_2)
	v_wmma_f32_16x16x16_fp8_fp8 v[16:23], v[6:7], v[150:151], v[16:23]
	s_wait_loadcnt 0x6
	v_wmma_f32_16x16x16_fp8_fp8 v[24:31], v[4:5], v[48:49], v[24:31]
	s_wait_loadcnt 0x5
	v_wmma_f32_16x16x16_fp8_fp8 v[16:23], v[0:1], v[66:67], v[16:23]
	s_delay_alu instid0(VALU_DEP_2)
	v_wmma_f32_16x16x16_fp8_fp8 v[24:31], v[6:7], v[50:51], v[24:31]
	scratch_load_b128 v[48:51], off, s33 offset:256
	v_wmma_f32_16x16x16_fp8_fp8 v[16:23], v[2:3], v[68:69], v[16:23]
	s_wait_loadcnt 0x5
	v_wmma_f32_16x16x16_fp8_fp8 v[24:31], v[0:1], v[96:97], v[24:31]
	s_clause 0x1
	flat_store_b128 v[52:53], v[16:19] offset:384
	flat_store_b128 v[52:53], v[20:23] offset:400
	v_wmma_f32_16x16x16_fp8_fp8 v[24:31], v[2:3], v[98:99], v[24:31]
	s_wait_loadcnt 0x4
	v_wmma_f32_16x16x16_fp8_fp8 v[32:39], v[4:5], v[112:113], v[32:39]
	; sched_group_barrier mask(0x00000008) size(8) SyncID(0)
	; sched_group_barrier mask(0x00000100) size(1) SyncID(0)
	s_wait_loadcnt 0x3
	v_wmma_f32_16x16x16_fp8_fp8 v[80:87], v[4:5], v[116:117], v[80:87]
	flat_store_b128 v[52:53], v[24:27] offset:416
	v_wmma_f32_16x16x16_fp8_fp8 v[32:39], v[6:7], v[114:115], v[32:39]
	flat_store_b128 v[52:53], v[28:31] offset:432
	v_wmma_f32_16x16x16_fp8_fp8 v[80:87], v[6:7], v[118:119], v[80:87]
	s_wait_loadcnt 0x2
	v_wmma_f32_16x16x16_fp8_fp8 v[32:39], v[0:1], v[12:13], v[32:39]
	s_wait_loadcnt 0x1
	s_delay_alu instid0(VALU_DEP_2) | instskip(NEXT) | instid1(VALU_DEP_2)
	v_wmma_f32_16x16x16_fp8_fp8 v[80:87], v[0:1], v[128:129], v[80:87]
	v_wmma_f32_16x16x16_fp8_fp8 v[32:39], v[2:3], v[14:15], v[32:39]
	s_delay_alu instid0(VALU_DEP_2)
	v_wmma_f32_16x16x16_fp8_fp8 v[80:87], v[2:3], v[130:131], v[80:87]
	; sched_group_barrier mask(0x00000008) size(8) SyncID(0)
	; sched_group_barrier mask(0x00000100) size(1) SyncID(0)
	s_clause 0x3
	flat_store_b128 v[52:53], v[36:39] offset:464
	flat_store_b128 v[52:53], v[32:35] offset:448
	;; [unrolled: 1-line block ×4, first 2 shown]
	s_clause 0x3
	flat_load_b64 v[7:8], v[64:65] offset:1148
	flat_load_b64 v[9:10], v[64:65] offset:1164
	flat_load_b128 v[0:3], v[64:65] offset:1176
	flat_load_b96 v[4:6], v[64:65] offset:1132
	flat_load_b64 v[11:12], v[54:55] offset:16
	s_wait_loadcnt 0x5
	v_ashrrev_i32_e32 v18, 16, v48
	v_ashrrev_i32_e32 v19, 8, v48
	;; [unrolled: 1-line block ×27, first 2 shown]
	s_wait_loadcnt_dscnt 0x303
	v_sub_nc_u32_e32 v7, v7, v10
	s_wait_loadcnt_dscnt 0x202
	v_add_nc_u32_e32 v13, 16, v3
	v_add_nc_u32_e32 v0, v9, v0
	v_sub_nc_u32_e32 v10, v8, v9
	s_wait_loadcnt_dscnt 0x101
	v_sub_nc_u32_e32 v2, v4, v2
	v_add3_u32 v1, v7, v1, 0x80
	v_add_nc_u32_e32 v7, 64, v3
	v_add_nc_u32_e32 v3, 0x50, v3
	v_ashrrev_i32_e32 v9, 31, v13
	v_sub_nc_u32_e32 v0, v8, v0
	v_ashrrev_i32_e32 v8, 31, v1
	v_ashrrev_i32_e32 v14, 31, v7
	;; [unrolled: 1-line block ×3, first 2 shown]
	v_lshrrev_b32_e32 v9, 28, v9
	v_sub_nc_u32_e32 v6, v1, v6
	v_lshrrev_b32_e32 v8, 29, v8
	v_lshrrev_b32_e32 v14, 28, v14
	;; [unrolled: 1-line block ×3, first 2 shown]
	v_add_nc_u32_e32 v9, v13, v9
	v_lshlrev_b32_e32 v6, 7, v6
	v_add_nc_u32_e32 v8, v1, v8
	v_add_nc_u32_e32 v14, v7, v14
	;; [unrolled: 1-line block ×3, first 2 shown]
	v_lshrrev_b32_e32 v16, 4, v9
	v_and_b32_e32 v9, -16, v9
	v_and_b32_e32 v8, -8, v8
	v_lshrrev_b32_e32 v17, 4, v14
	v_lshrrev_b32_e32 v70, 4, v15
	v_and_b32_e32 v14, -16, v14
	v_sub_nc_u32_e32 v9, v13, v9
	v_sub_nc_u32_e32 v1, v1, v8
	v_and_b32_e32 v8, -16, v15
	v_add_nc_u32_e32 v15, v16, v0
	v_add_nc_u32_e32 v16, v17, v0
	;; [unrolled: 1-line block ×3, first 2 shown]
	v_xor_b32_e32 v10, v1, v10
	v_add_nc_u32_e32 v2, v2, v6
	v_xor_b32_e32 v13, v15, v1
	v_xor_b32_e32 v15, v16, v1
	;; [unrolled: 1-line block ×3, first 2 shown]
	v_sub_nc_u32_e32 v1, v10, v5
	v_sub_nc_u32_e32 v7, v7, v14
	v_sub_nc_u32_e32 v10, v13, v5
	v_sub_nc_u32_e32 v13, v15, v5
	v_sub_nc_u32_e32 v0, v0, v5
	v_lshlrev_b32_e32 v1, 4, v1
	v_sub_nc_u32_e32 v3, v3, v8
	v_lshlrev_b32_e32 v5, 4, v10
	v_lshlrev_b32_e32 v8, 4, v13
	;; [unrolled: 1-line block ×3, first 2 shown]
	v_add3_u32 v1, v6, v4, v1
	v_ashrrev_i32_e32 v70, 12, v51
	v_add3_u32 v4, v9, v2, v5
	v_add3_u32 v5, v7, v2, v8
	;; [unrolled: 1-line block ×3, first 2 shown]
	v_ashrrev_i32_e32 v6, 31, v1
	s_wait_loadcnt_dscnt 0x0
	v_add_co_u32 v0, vcc_lo, v11, v1
	v_ashrrev_i32_e32 v7, 31, v4
	v_ashrrev_i32_e32 v8, 31, v5
	;; [unrolled: 1-line block ×3, first 2 shown]
	v_add_co_u32 v2, s0, v11, v4
	v_add_co_u32 v4, s1, v11, v5
	;; [unrolled: 1-line block ×3, first 2 shown]
	s_wait_alu 0xfffd
	v_add_co_ci_u32_e64 v1, null, v12, v6, vcc_lo
	s_wait_alu 0xf1ff
	v_add_co_ci_u32_e64 v3, null, v12, v7, s0
	v_add_co_ci_u32_e64 v5, null, v12, v8, s1
	;; [unrolled: 1-line block ×3, first 2 shown]
	s_clause 0x3
	flat_load_b128 v[12:15], v[0:1]
	flat_load_b128 v[8:11], v[2:3]
	;; [unrolled: 1-line block ×4, first 2 shown]
	;;#ASMSTART
	v_cvt_off_f32_i4 v48, v48
	;;#ASMEND
	;;#ASMSTART
	v_cvt_off_f32_i4 v80, v18
	;;#ASMEND
	;;#ASMSTART
	v_cvt_off_f32_i4 v81, v19
	;;#ASMEND
	;;#ASMSTART
	v_cvt_off_f32_i4 v82, v20
	;;#ASMEND
	;;#ASMSTART
	v_cvt_off_f32_i4 v83, v21
	;;#ASMEND
	;;#ASMSTART
	v_cvt_off_f32_i4 v84, v22
	;;#ASMEND
	;;#ASMSTART
	v_cvt_off_f32_i4 v85, v23
	;;#ASMEND
	;;#ASMSTART
	v_cvt_off_f32_i4 v86, v24
	;;#ASMEND
	;;#ASMSTART
	v_cvt_off_f32_i4 v49, v49
	;;#ASMEND
	;;#ASMSTART
	v_cvt_off_f32_i4 v87, v25
	;;#ASMEND
	;;#ASMSTART
	v_cvt_off_f32_i4 v96, v26
	;;#ASMEND
	;;#ASMSTART
	v_cvt_off_f32_i4 v97, v27
	;;#ASMEND
	;;#ASMSTART
	v_cvt_off_f32_i4 v28, v28
	;;#ASMEND
	;;#ASMSTART
	v_cvt_off_f32_i4 v29, v29
	;;#ASMEND
	;;#ASMSTART
	v_cvt_off_f32_i4 v30, v30
	;;#ASMEND
	;;#ASMSTART
	v_cvt_off_f32_i4 v31, v31
	;;#ASMEND
	;;#ASMSTART
	v_cvt_off_f32_i4 v50, v50
	;;#ASMEND
	;;#ASMSTART
	v_cvt_off_f32_i4 v32, v32
	;;#ASMEND
	;;#ASMSTART
	v_cvt_off_f32_i4 v33, v33
	;;#ASMEND
	;;#ASMSTART
	v_cvt_off_f32_i4 v34, v34
	;;#ASMEND
	;;#ASMSTART
	v_cvt_off_f32_i4 v35, v35
	;;#ASMEND
	;;#ASMSTART
	v_cvt_off_f32_i4 v36, v36
	;;#ASMEND
	;;#ASMSTART
	v_cvt_off_f32_i4 v37, v37
	;;#ASMEND
	;;#ASMSTART
	v_cvt_off_f32_i4 v38, v38
	;;#ASMEND
	;;#ASMSTART
	v_cvt_off_f32_i4 v51, v51
	;;#ASMEND
	;;#ASMSTART
	v_cvt_off_f32_i4 v39, v39
	;;#ASMEND
	;;#ASMSTART
	v_cvt_off_f32_i4 v66, v66
	;;#ASMEND
	;;#ASMSTART
	v_cvt_off_f32_i4 v67, v67
	;;#ASMEND
	;;#ASMSTART
	v_cvt_off_f32_i4 v68, v68
	;;#ASMEND
	;;#ASMSTART
	v_cvt_off_f32_i4 v69, v69
	;;#ASMEND
	;;#ASMSTART
	v_cvt_off_f32_i4 v70, v70
	;;#ASMEND
	;;#ASMSTART
	v_cvt_off_f32_i4 v71, v71
	;;#ASMEND
	scratch_load_b128 v[16:19], off, s33 offset:320
	v_dual_mov_b32 v20, v100 :: v_dual_mov_b32 v21, v100
	v_dual_mov_b32 v22, v100 :: v_dual_mov_b32 v23, v100
	;; [unrolled: 1-line block ×4, first 2 shown]
	s_delay_alu instid0(VALU_DEP_4)
	v_cvt_pk_fp8_f32 v20, v48, v80
	v_cvt_pk_fp8_f32 v21, v81, v82
	;; [unrolled: 1-line block ×8, first 2 shown]
	v_cvt_pk_fp8_f32 v20, v83, v84 op_sel:[0,0,1]
	v_cvt_pk_fp8_f32 v21, v85, v86 op_sel:[0,0,1]
	;; [unrolled: 1-line block ×8, first 2 shown]
	s_clause 0x1
	scratch_store_b128 off, v[20:23], s33 offset:768
	scratch_store_b128 off, v[24:27], s33 offset:784
	s_wait_loadcnt 0x0
	;;#ASMSTART
	v_cvt_off_f32_i4 v28, v16
	;;#ASMEND
	v_ashrrev_i32_e32 v20, 16, v16
	v_ashrrev_i32_e32 v21, 8, v16
	;; [unrolled: 1-line block ×28, first 2 shown]
	;;#ASMSTART
	v_cvt_off_f32_i4 v70, v20
	;;#ASMEND
	;;#ASMSTART
	v_cvt_off_f32_i4 v71, v21
	;;#ASMEND
	;;#ASMSTART
	v_cvt_off_f32_i4 v80, v22
	;;#ASMEND
	;;#ASMSTART
	v_cvt_off_f32_i4 v81, v23
	;;#ASMEND
	;;#ASMSTART
	v_cvt_off_f32_i4 v82, v24
	;;#ASMEND
	;;#ASMSTART
	v_cvt_off_f32_i4 v83, v25
	;;#ASMEND
	;;#ASMSTART
	v_cvt_off_f32_i4 v84, v16
	;;#ASMEND
	;;#ASMSTART
	v_cvt_off_f32_i4 v85, v17
	;;#ASMEND
	;;#ASMSTART
	v_cvt_off_f32_i4 v86, v26
	;;#ASMEND
	;;#ASMSTART
	v_cvt_off_f32_i4 v87, v27
	;;#ASMEND
	;;#ASMSTART
	v_cvt_off_f32_i4 v29, v29
	;;#ASMEND
	;;#ASMSTART
	v_cvt_off_f32_i4 v30, v30
	;;#ASMEND
	;;#ASMSTART
	v_cvt_off_f32_i4 v31, v31
	;;#ASMEND
	;;#ASMSTART
	v_cvt_off_f32_i4 v32, v32
	;;#ASMEND
	;;#ASMSTART
	v_cvt_off_f32_i4 v33, v33
	;;#ASMEND
	;;#ASMSTART
	v_cvt_off_f32_i4 v96, v18
	;;#ASMEND
	;;#ASMSTART
	v_cvt_off_f32_i4 v34, v34
	;;#ASMEND
	;;#ASMSTART
	v_cvt_off_f32_i4 v35, v35
	;;#ASMEND
	;;#ASMSTART
	v_cvt_off_f32_i4 v36, v36
	;;#ASMEND
	;;#ASMSTART
	v_cvt_off_f32_i4 v37, v37
	;;#ASMEND
	;;#ASMSTART
	v_cvt_off_f32_i4 v38, v38
	;;#ASMEND
	;;#ASMSTART
	v_cvt_off_f32_i4 v39, v39
	;;#ASMEND
	;;#ASMSTART
	v_cvt_off_f32_i4 v48, v48
	;;#ASMEND
	;;#ASMSTART
	v_cvt_off_f32_i4 v97, v19
	;;#ASMEND
	;;#ASMSTART
	v_cvt_off_f32_i4 v49, v49
	;;#ASMEND
	;;#ASMSTART
	v_cvt_off_f32_i4 v50, v50
	;;#ASMEND
	;;#ASMSTART
	v_cvt_off_f32_i4 v51, v51
	;;#ASMEND
	;;#ASMSTART
	v_cvt_off_f32_i4 v66, v66
	;;#ASMEND
	;;#ASMSTART
	v_cvt_off_f32_i4 v67, v67
	;;#ASMEND
	;;#ASMSTART
	v_cvt_off_f32_i4 v68, v68
	;;#ASMEND
	;;#ASMSTART
	v_cvt_off_f32_i4 v69, v69
	;;#ASMEND
	scratch_load_b128 v[16:19], off, s33 offset:384
	v_dual_mov_b32 v20, v100 :: v_dual_mov_b32 v21, v100
	v_dual_mov_b32 v22, v100 :: v_dual_mov_b32 v23, v100
	;; [unrolled: 1-line block ×4, first 2 shown]
	s_delay_alu instid0(VALU_DEP_4)
	v_cvt_pk_fp8_f32 v20, v28, v70
	v_cvt_pk_fp8_f32 v21, v71, v80
	;; [unrolled: 1-line block ×8, first 2 shown]
	v_cvt_pk_fp8_f32 v20, v81, v82 op_sel:[0,0,1]
	v_cvt_pk_fp8_f32 v21, v83, v84 op_sel:[0,0,1]
	v_cvt_pk_fp8_f32 v22, v30, v31 op_sel:[0,0,1]
	v_cvt_pk_fp8_f32 v23, v32, v33 op_sel:[0,0,1]
	v_cvt_pk_fp8_f32 v24, v37, v38 op_sel:[0,0,1]
	v_cvt_pk_fp8_f32 v25, v39, v48 op_sel:[0,0,1]
	v_cvt_pk_fp8_f32 v26, v66, v67 op_sel:[0,0,1]
	v_cvt_pk_fp8_f32 v27, v68, v69 op_sel:[0,0,1]
	s_clause 0x1
	scratch_store_b128 off, v[20:23], s33 offset:832
	scratch_store_b128 off, v[24:27], s33 offset:848
	s_wait_loadcnt 0x0
	;;#ASMSTART
	v_cvt_off_f32_i4 v28, v16
	;;#ASMEND
	v_ashrrev_i32_e32 v20, 16, v16
	v_ashrrev_i32_e32 v21, 8, v16
	;; [unrolled: 1-line block ×28, first 2 shown]
	;;#ASMSTART
	v_cvt_off_f32_i4 v70, v20
	;;#ASMEND
	;;#ASMSTART
	v_cvt_off_f32_i4 v71, v21
	;;#ASMEND
	;; [unrolled: 3-line block ×31, first 2 shown]
	scratch_load_b128 v[16:19], off, s33 offset:448
	v_dual_mov_b32 v20, v100 :: v_dual_mov_b32 v21, v100
	v_dual_mov_b32 v22, v100 :: v_dual_mov_b32 v23, v100
	;; [unrolled: 1-line block ×4, first 2 shown]
	s_delay_alu instid0(VALU_DEP_4)
	v_cvt_pk_fp8_f32 v20, v28, v70
	v_cvt_pk_fp8_f32 v21, v71, v80
	v_cvt_pk_fp8_f32 v22, v85, v86
	v_cvt_pk_fp8_f32 v23, v87, v29
	v_cvt_pk_fp8_f32 v24, v96, v34
	v_cvt_pk_fp8_f32 v25, v35, v36
	v_cvt_pk_fp8_f32 v26, v97, v49
	v_cvt_pk_fp8_f32 v27, v50, v51
	v_cvt_pk_fp8_f32 v20, v81, v82 op_sel:[0,0,1]
	v_cvt_pk_fp8_f32 v21, v83, v84 op_sel:[0,0,1]
	;; [unrolled: 1-line block ×8, first 2 shown]
	s_clause 0x1
	scratch_store_b128 off, v[20:23], s33 offset:896
	scratch_store_b128 off, v[24:27], s33 offset:912
	s_wait_loadcnt 0x0
	;;#ASMSTART
	v_cvt_off_f32_i4 v28, v16
	;;#ASMEND
	v_ashrrev_i32_e32 v20, 16, v16
	v_ashrrev_i32_e32 v21, 8, v16
	;; [unrolled: 1-line block ×28, first 2 shown]
	;;#ASMSTART
	v_cvt_off_f32_i4 v70, v20
	;;#ASMEND
	;;#ASMSTART
	v_cvt_off_f32_i4 v71, v21
	;;#ASMEND
	;; [unrolled: 3-line block ×31, first 2 shown]
	scratch_load_b128 v[16:19], off, s33 offset:480
	v_dual_mov_b32 v20, v100 :: v_dual_mov_b32 v21, v100
	v_dual_mov_b32 v22, v100 :: v_dual_mov_b32 v23, v100
	;; [unrolled: 1-line block ×4, first 2 shown]
	s_delay_alu instid0(VALU_DEP_4)
	v_cvt_pk_fp8_f32 v20, v28, v70
	v_cvt_pk_fp8_f32 v21, v71, v80
	;; [unrolled: 1-line block ×8, first 2 shown]
	v_cvt_pk_fp8_f32 v20, v81, v82 op_sel:[0,0,1]
	v_cvt_pk_fp8_f32 v21, v83, v84 op_sel:[0,0,1]
	;; [unrolled: 1-line block ×8, first 2 shown]
	s_clause 0x1
	scratch_store_b128 off, v[20:23], s33 offset:960
	scratch_store_b128 off, v[24:27], s33 offset:976
	s_wait_loadcnt 0x0
	;;#ASMSTART
	v_cvt_off_f32_i4 v28, v16
	;;#ASMEND
	v_ashrrev_i32_e32 v20, 16, v16
	v_ashrrev_i32_e32 v21, 8, v16
	;; [unrolled: 1-line block ×28, first 2 shown]
	;;#ASMSTART
	v_cvt_off_f32_i4 v70, v20
	;;#ASMEND
	;;#ASMSTART
	v_cvt_off_f32_i4 v71, v21
	;;#ASMEND
	;;#ASMSTART
	v_cvt_off_f32_i4 v80, v22
	;;#ASMEND
	;;#ASMSTART
	v_cvt_off_f32_i4 v81, v23
	;;#ASMEND
	;;#ASMSTART
	v_cvt_off_f32_i4 v82, v24
	;;#ASMEND
	;;#ASMSTART
	v_cvt_off_f32_i4 v83, v25
	;;#ASMEND
	;;#ASMSTART
	v_cvt_off_f32_i4 v84, v16
	;;#ASMEND
	;;#ASMSTART
	v_cvt_off_f32_i4 v85, v17
	;;#ASMEND
	;;#ASMSTART
	v_cvt_off_f32_i4 v86, v26
	;;#ASMEND
	;;#ASMSTART
	v_cvt_off_f32_i4 v87, v27
	;;#ASMEND
	;;#ASMSTART
	v_cvt_off_f32_i4 v29, v29
	;;#ASMEND
	;;#ASMSTART
	v_cvt_off_f32_i4 v30, v30
	;;#ASMEND
	;;#ASMSTART
	v_cvt_off_f32_i4 v31, v31
	;;#ASMEND
	;;#ASMSTART
	v_cvt_off_f32_i4 v32, v32
	;;#ASMEND
	;;#ASMSTART
	v_cvt_off_f32_i4 v33, v33
	;;#ASMEND
	;;#ASMSTART
	v_cvt_off_f32_i4 v96, v18
	;;#ASMEND
	;;#ASMSTART
	v_cvt_off_f32_i4 v34, v34
	;;#ASMEND
	;;#ASMSTART
	v_cvt_off_f32_i4 v35, v35
	;;#ASMEND
	;;#ASMSTART
	v_cvt_off_f32_i4 v36, v36
	;;#ASMEND
	;;#ASMSTART
	v_cvt_off_f32_i4 v37, v37
	;;#ASMEND
	;;#ASMSTART
	v_cvt_off_f32_i4 v38, v38
	;;#ASMEND
	;;#ASMSTART
	v_cvt_off_f32_i4 v39, v39
	;;#ASMEND
	;;#ASMSTART
	v_cvt_off_f32_i4 v48, v48
	;;#ASMEND
	;;#ASMSTART
	v_cvt_off_f32_i4 v97, v19
	;;#ASMEND
	;;#ASMSTART
	v_cvt_off_f32_i4 v49, v49
	;;#ASMEND
	;;#ASMSTART
	v_cvt_off_f32_i4 v50, v50
	;;#ASMEND
	;;#ASMSTART
	v_cvt_off_f32_i4 v51, v51
	;;#ASMEND
	;;#ASMSTART
	v_cvt_off_f32_i4 v66, v66
	;;#ASMEND
	;;#ASMSTART
	v_cvt_off_f32_i4 v67, v67
	;;#ASMEND
	;;#ASMSTART
	v_cvt_off_f32_i4 v68, v68
	;;#ASMEND
	;;#ASMSTART
	v_cvt_off_f32_i4 v69, v69
	;;#ASMEND
	scratch_load_b128 v[16:19], off, s33 offset:416
	v_dual_mov_b32 v20, v100 :: v_dual_mov_b32 v21, v100
	v_dual_mov_b32 v22, v100 :: v_dual_mov_b32 v23, v100
	;; [unrolled: 1-line block ×4, first 2 shown]
	s_delay_alu instid0(VALU_DEP_4)
	v_cvt_pk_fp8_f32 v20, v28, v70
	v_cvt_pk_fp8_f32 v21, v71, v80
	;; [unrolled: 1-line block ×8, first 2 shown]
	v_cvt_pk_fp8_f32 v20, v81, v82 op_sel:[0,0,1]
	v_cvt_pk_fp8_f32 v21, v83, v84 op_sel:[0,0,1]
	;; [unrolled: 1-line block ×8, first 2 shown]
	s_clause 0x1
	scratch_store_b128 off, v[20:23], s33 offset:992
	scratch_store_b128 off, v[24:27], s33 offset:1008
	s_wait_loadcnt 0x0
	;;#ASMSTART
	v_cvt_off_f32_i4 v28, v16
	;;#ASMEND
	v_ashrrev_i32_e32 v20, 16, v16
	v_ashrrev_i32_e32 v21, 8, v16
	;; [unrolled: 1-line block ×28, first 2 shown]
	;;#ASMSTART
	v_cvt_off_f32_i4 v70, v20
	;;#ASMEND
	;;#ASMSTART
	v_cvt_off_f32_i4 v71, v21
	;;#ASMEND
	;; [unrolled: 3-line block ×31, first 2 shown]
	scratch_load_b128 v[16:19], off, s33 offset:352
	v_dual_mov_b32 v20, v100 :: v_dual_mov_b32 v21, v100
	v_dual_mov_b32 v22, v100 :: v_dual_mov_b32 v23, v100
	;; [unrolled: 1-line block ×4, first 2 shown]
	s_delay_alu instid0(VALU_DEP_4)
	v_cvt_pk_fp8_f32 v20, v28, v70
	v_cvt_pk_fp8_f32 v21, v71, v80
	;; [unrolled: 1-line block ×8, first 2 shown]
	v_cvt_pk_fp8_f32 v20, v81, v82 op_sel:[0,0,1]
	v_cvt_pk_fp8_f32 v21, v83, v84 op_sel:[0,0,1]
	;; [unrolled: 1-line block ×8, first 2 shown]
	s_clause 0x1
	scratch_store_b128 off, v[20:23], s33 offset:928
	scratch_store_b128 off, v[24:27], s33 offset:944
	s_wait_loadcnt 0x0
	;;#ASMSTART
	v_cvt_off_f32_i4 v33, v16
	;;#ASMEND
	v_ashrrev_i32_e32 v20, 16, v16
	v_ashrrev_i32_e32 v21, 8, v16
	v_ashrrev_i32_e32 v22, 24, v16
	v_ashrrev_i32_e32 v23, 4, v16
	v_ashrrev_i32_e32 v24, 20, v16
	v_ashrrev_i32_e32 v25, 12, v16
	v_ashrrev_i32_e32 v16, 28, v16
	v_ashrrev_i32_e32 v34, 16, v18
	v_ashrrev_i32_e32 v35, 8, v18
	v_ashrrev_i32_e32 v36, 24, v18
	v_ashrrev_i32_e32 v37, 4, v18
	v_ashrrev_i32_e32 v38, 20, v18
	v_ashrrev_i32_e32 v39, 12, v18
	v_ashrrev_i32_e32 v48, 28, v18
	v_ashrrev_i32_e32 v49, 16, v19
	v_ashrrev_i32_e32 v50, 8, v19
	v_ashrrev_i32_e32 v51, 24, v19
	v_ashrrev_i32_e32 v66, 4, v19
	v_ashrrev_i32_e32 v67, 20, v19
	v_ashrrev_i32_e32 v68, 12, v19
	v_ashrrev_i32_e32 v69, 28, v19
	v_ashrrev_i32_e32 v26, 16, v17
	v_ashrrev_i32_e32 v27, 8, v17
	v_ashrrev_i32_e32 v28, 24, v17
	v_ashrrev_i32_e32 v29, 4, v17
	v_ashrrev_i32_e32 v30, 20, v17
	v_ashrrev_i32_e32 v31, 12, v17
	v_ashrrev_i32_e32 v32, 28, v17
	;;#ASMSTART
	v_cvt_off_f32_i4 v70, v20
	;;#ASMEND
	;;#ASMSTART
	v_cvt_off_f32_i4 v71, v21
	;;#ASMEND
	;; [unrolled: 3-line block ×31, first 2 shown]
	scratch_load_b128 v[16:19], off, s33 offset:288
	v_dual_mov_b32 v20, v100 :: v_dual_mov_b32 v21, v100
	v_dual_mov_b32 v22, v100 :: v_dual_mov_b32 v23, v100
	;; [unrolled: 1-line block ×4, first 2 shown]
	s_delay_alu instid0(VALU_DEP_4)
	v_cvt_pk_fp8_f32 v20, v33, v70
	v_cvt_pk_fp8_f32 v21, v71, v80
	v_cvt_pk_fp8_f32 v22, v85, v86
	v_cvt_pk_fp8_f32 v23, v87, v96
	v_cvt_pk_fp8_f32 v24, v102, v34
	v_cvt_pk_fp8_f32 v25, v35, v36
	v_cvt_pk_fp8_f32 v26, v103, v49
	v_cvt_pk_fp8_f32 v27, v50, v51
	v_cvt_pk_fp8_f32 v20, v81, v82 op_sel:[0,0,1]
	v_cvt_pk_fp8_f32 v21, v83, v84 op_sel:[0,0,1]
	;; [unrolled: 1-line block ×8, first 2 shown]
	v_dual_mov_b32 v28, v100 :: v_dual_mov_b32 v29, v100
	v_dual_mov_b32 v30, v100 :: v_dual_mov_b32 v31, v100
	;; [unrolled: 1-line block ×4, first 2 shown]
	s_clause 0x1
	scratch_store_b128 off, v[20:23], s33 offset:864
	scratch_store_b128 off, v[24:27], s33 offset:880
	s_wait_loadcnt 0x0
	;;#ASMSTART
	v_cvt_off_f32_i4 v20, v16
	;;#ASMEND
	v_ashrrev_i32_e32 v21, 16, v16
	v_ashrrev_i32_e32 v22, 8, v16
	;; [unrolled: 1-line block ×28, first 2 shown]
	;;#ASMSTART
	v_cvt_off_f32_i4 v21, v21
	;;#ASMEND
	;;#ASMSTART
	v_cvt_off_f32_i4 v22, v22
	;;#ASMEND
	;; [unrolled: 3-line block ×27, first 2 shown]
	v_cvt_pk_fp8_f32 v28, v20, v21
	v_cvt_pk_fp8_f32 v29, v22, v23
	;; [unrolled: 1-line block ×8, first 2 shown]
	;;#ASMSTART
	v_cvt_off_f32_i4 v82, v82
	;;#ASMEND
	;;#ASMSTART
	v_cvt_off_f32_i4 v83, v83
	;;#ASMEND
	;; [unrolled: 3-line block ×4, first 2 shown]
	v_cvt_pk_fp8_f32 v28, v24, v25 op_sel:[0,0,1]
	v_cvt_pk_fp8_f32 v29, v26, v16 op_sel:[0,0,1]
	;; [unrolled: 1-line block ×8, first 2 shown]
	s_clause 0x1
	scratch_store_b128 off, v[28:31], s33 offset:800
	scratch_store_b128 off, v[32:35], s33 offset:816
	; sched_barrier mask(0x00000000)
	scratch_load_b128 v[48:51], off, s33 offset:768
	s_clause 0x1
	flat_load_b128 v[20:23], v[52:53] offset:528
	flat_load_b128 v[16:19], v[52:53] offset:512
	scratch_load_b128 v[66:69], off, s33 offset:832
	s_clause 0x1
	flat_load_b128 v[28:31], v[52:53] offset:560
	flat_load_b128 v[24:27], v[52:53] offset:544
	s_clause 0x2
	scratch_load_b128 v[96:99], off, s33 offset:784
	scratch_load_b128 v[112:115], off, s33 offset:848
	;; [unrolled: 1-line block ×3, first 2 shown]
	s_clause 0x1
	flat_load_b128 v[36:39], v[52:53] offset:592
	flat_load_b128 v[32:35], v[52:53] offset:576
	scratch_load_b128 v[128:131], off, s33 offset:960
	s_clause 0x1
	flat_load_b128 v[84:87], v[52:53] offset:624
	flat_load_b128 v[80:83], v[52:53] offset:608
	s_clause 0x2
	scratch_load_b128 v[132:135], off, s33 offset:912
	scratch_load_b128 v[144:147], off, s33 offset:976
	scratch_load_b128 v[148:151], off, s33 offset:800
	s_wait_loadcnt_dscnt 0xe06
	v_wmma_f32_16x16x16_fp8_fp8 v[16:23], v[12:13], v[48:49], v[16:23]
	s_wait_loadcnt_dscnt 0xb04
	v_wmma_f32_16x16x16_fp8_fp8 v[24:31], v[12:13], v[66:67], v[24:31]
	s_delay_alu instid0(VALU_DEP_2)
	v_wmma_f32_16x16x16_fp8_fp8 v[16:23], v[14:15], v[50:51], v[16:23]
	scratch_load_b128 v[48:51], off, s33 offset:864
	v_wmma_f32_16x16x16_fp8_fp8 v[24:31], v[14:15], v[68:69], v[24:31]
	scratch_load_b128 v[66:69], off, s33 offset:816
	s_wait_loadcnt 0xc
	v_wmma_f32_16x16x16_fp8_fp8 v[16:23], v[8:9], v[96:97], v[16:23]
	s_wait_loadcnt 0xb
	v_wmma_f32_16x16x16_fp8_fp8 v[24:31], v[8:9], v[112:113], v[24:31]
	s_delay_alu instid0(VALU_DEP_2)
	v_wmma_f32_16x16x16_fp8_fp8 v[16:23], v[10:11], v[98:99], v[16:23]
	scratch_load_b128 v[96:99], off, s33 offset:880
	v_wmma_f32_16x16x16_fp8_fp8 v[24:31], v[10:11], v[114:115], v[24:31]
	s_wait_loadcnt_dscnt 0x902
	v_wmma_f32_16x16x16_fp8_fp8 v[32:39], v[12:13], v[116:117], v[32:39]
	scratch_load_b128 v[112:115], off, s33 offset:928
	s_wait_loadcnt_dscnt 0x700
	v_wmma_f32_16x16x16_fp8_fp8 v[80:87], v[12:13], v[128:129], v[80:87]
	; sched_group_barrier mask(0x00000008) size(8) SyncID(0)
	; sched_group_barrier mask(0x00000100) size(1) SyncID(0)
	v_wmma_f32_16x16x16_fp8_fp8 v[32:39], v[14:15], v[118:119], v[32:39]
	scratch_load_b128 v[116:119], off, s33 offset:992
	v_wmma_f32_16x16x16_fp8_fp8 v[80:87], v[14:15], v[130:131], v[80:87]
	s_clause 0x1
	scratch_load_b128 v[12:15], off, s33 offset:944
	scratch_load_b128 v[128:131], off, s33 offset:1008
	s_wait_loadcnt 0x9
	v_wmma_f32_16x16x16_fp8_fp8 v[32:39], v[8:9], v[132:133], v[32:39]
	s_wait_loadcnt 0x8
	v_wmma_f32_16x16x16_fp8_fp8 v[80:87], v[8:9], v[144:145], v[80:87]
	s_delay_alu instid0(VALU_DEP_2) | instskip(NEXT) | instid1(VALU_DEP_2)
	v_wmma_f32_16x16x16_fp8_fp8 v[32:39], v[10:11], v[134:135], v[32:39]
	v_wmma_f32_16x16x16_fp8_fp8 v[80:87], v[10:11], v[146:147], v[80:87]
	s_wait_loadcnt 0x7
	v_wmma_f32_16x16x16_fp8_fp8 v[16:23], v[4:5], v[148:149], v[16:23]
	; sched_group_barrier mask(0x00000008) size(8) SyncID(0)
	; sched_group_barrier mask(0x00000100) size(1) SyncID(0)
	s_delay_alu instid0(VALU_DEP_1) | instskip(SKIP_3) | instid1(VALU_DEP_2)
	v_wmma_f32_16x16x16_fp8_fp8 v[16:23], v[6:7], v[150:151], v[16:23]
	s_wait_loadcnt 0x6
	v_wmma_f32_16x16x16_fp8_fp8 v[24:31], v[4:5], v[48:49], v[24:31]
	s_wait_loadcnt 0x5
	v_wmma_f32_16x16x16_fp8_fp8 v[16:23], v[0:1], v[66:67], v[16:23]
	s_delay_alu instid0(VALU_DEP_2)
	v_wmma_f32_16x16x16_fp8_fp8 v[24:31], v[6:7], v[50:51], v[24:31]
	scratch_load_b128 v[48:51], off, s33 offset:256
	v_wmma_f32_16x16x16_fp8_fp8 v[16:23], v[2:3], v[68:69], v[16:23]
	s_wait_loadcnt 0x5
	v_wmma_f32_16x16x16_fp8_fp8 v[24:31], v[0:1], v[96:97], v[24:31]
	s_clause 0x1
	flat_store_b128 v[52:53], v[16:19] offset:512
	flat_store_b128 v[52:53], v[20:23] offset:528
	v_wmma_f32_16x16x16_fp8_fp8 v[24:31], v[2:3], v[98:99], v[24:31]
	s_wait_loadcnt 0x4
	v_wmma_f32_16x16x16_fp8_fp8 v[32:39], v[4:5], v[112:113], v[32:39]
	; sched_group_barrier mask(0x00000008) size(8) SyncID(0)
	; sched_group_barrier mask(0x00000100) size(1) SyncID(0)
	s_wait_loadcnt 0x3
	v_wmma_f32_16x16x16_fp8_fp8 v[80:87], v[4:5], v[116:117], v[80:87]
	flat_store_b128 v[52:53], v[24:27] offset:544
	v_wmma_f32_16x16x16_fp8_fp8 v[32:39], v[6:7], v[114:115], v[32:39]
	flat_store_b128 v[52:53], v[28:31] offset:560
	v_wmma_f32_16x16x16_fp8_fp8 v[80:87], v[6:7], v[118:119], v[80:87]
	s_wait_loadcnt 0x2
	v_wmma_f32_16x16x16_fp8_fp8 v[32:39], v[0:1], v[12:13], v[32:39]
	s_wait_loadcnt 0x1
	s_delay_alu instid0(VALU_DEP_2) | instskip(NEXT) | instid1(VALU_DEP_2)
	v_wmma_f32_16x16x16_fp8_fp8 v[80:87], v[0:1], v[128:129], v[80:87]
	v_wmma_f32_16x16x16_fp8_fp8 v[32:39], v[2:3], v[14:15], v[32:39]
	s_delay_alu instid0(VALU_DEP_2)
	v_wmma_f32_16x16x16_fp8_fp8 v[80:87], v[2:3], v[130:131], v[80:87]
	; sched_group_barrier mask(0x00000008) size(8) SyncID(0)
	; sched_group_barrier mask(0x00000100) size(1) SyncID(0)
	s_clause 0x3
	flat_store_b128 v[52:53], v[36:39] offset:592
	flat_store_b128 v[52:53], v[32:35] offset:576
	flat_store_b128 v[52:53], v[84:87] offset:624
	flat_store_b128 v[52:53], v[80:83] offset:608
	s_clause 0x3
	flat_load_b64 v[7:8], v[64:65] offset:1148
	flat_load_b64 v[9:10], v[64:65] offset:1164
	flat_load_b128 v[0:3], v[64:65] offset:1176
	flat_load_b96 v[4:6], v[64:65] offset:1132
	flat_load_b64 v[11:12], v[54:55] offset:16
	s_wait_loadcnt 0x5
	v_ashrrev_i32_e32 v18, 16, v48
	v_ashrrev_i32_e32 v19, 8, v48
	;; [unrolled: 1-line block ×27, first 2 shown]
	s_wait_loadcnt_dscnt 0x303
	v_sub_nc_u32_e32 v7, v7, v10
	s_wait_loadcnt_dscnt 0x202
	v_add_nc_u32_e32 v13, 16, v3
	v_add_nc_u32_e32 v0, v9, v0
	v_sub_nc_u32_e32 v10, v8, v9
	s_wait_loadcnt_dscnt 0x101
	v_sub_nc_u32_e32 v2, v4, v2
	v_add3_u32 v1, v7, v1, 0xa0
	v_add_nc_u32_e32 v7, 64, v3
	v_add_nc_u32_e32 v3, 0x50, v3
	v_ashrrev_i32_e32 v9, 31, v13
	v_sub_nc_u32_e32 v0, v8, v0
	v_ashrrev_i32_e32 v8, 31, v1
	v_ashrrev_i32_e32 v14, 31, v7
	;; [unrolled: 1-line block ×3, first 2 shown]
	v_lshrrev_b32_e32 v9, 28, v9
	v_sub_nc_u32_e32 v6, v1, v6
	v_lshrrev_b32_e32 v8, 29, v8
	v_lshrrev_b32_e32 v14, 28, v14
	;; [unrolled: 1-line block ×3, first 2 shown]
	v_add_nc_u32_e32 v9, v13, v9
	v_lshlrev_b32_e32 v6, 7, v6
	v_add_nc_u32_e32 v8, v1, v8
	v_add_nc_u32_e32 v14, v7, v14
	;; [unrolled: 1-line block ×3, first 2 shown]
	v_lshrrev_b32_e32 v16, 4, v9
	v_and_b32_e32 v9, -16, v9
	v_and_b32_e32 v8, -8, v8
	v_lshrrev_b32_e32 v17, 4, v14
	v_lshrrev_b32_e32 v70, 4, v15
	v_and_b32_e32 v14, -16, v14
	v_sub_nc_u32_e32 v9, v13, v9
	v_sub_nc_u32_e32 v1, v1, v8
	v_and_b32_e32 v8, -16, v15
	v_add_nc_u32_e32 v15, v16, v0
	v_add_nc_u32_e32 v16, v17, v0
	;; [unrolled: 1-line block ×3, first 2 shown]
	v_xor_b32_e32 v10, v1, v10
	v_add_nc_u32_e32 v2, v2, v6
	v_xor_b32_e32 v13, v15, v1
	v_xor_b32_e32 v15, v16, v1
	;; [unrolled: 1-line block ×3, first 2 shown]
	v_sub_nc_u32_e32 v1, v10, v5
	v_sub_nc_u32_e32 v7, v7, v14
	;; [unrolled: 1-line block ×5, first 2 shown]
	v_lshlrev_b32_e32 v1, 4, v1
	v_sub_nc_u32_e32 v3, v3, v8
	v_lshlrev_b32_e32 v5, 4, v10
	v_lshlrev_b32_e32 v8, 4, v13
	;; [unrolled: 1-line block ×3, first 2 shown]
	v_add3_u32 v1, v6, v4, v1
	v_ashrrev_i32_e32 v70, 12, v51
	v_add3_u32 v4, v9, v2, v5
	v_add3_u32 v5, v7, v2, v8
	;; [unrolled: 1-line block ×3, first 2 shown]
	v_ashrrev_i32_e32 v6, 31, v1
	s_wait_loadcnt_dscnt 0x0
	v_add_co_u32 v0, vcc_lo, v11, v1
	v_ashrrev_i32_e32 v7, 31, v4
	v_ashrrev_i32_e32 v8, 31, v5
	;; [unrolled: 1-line block ×3, first 2 shown]
	v_add_co_u32 v2, s0, v11, v4
	v_add_co_u32 v4, s1, v11, v5
	v_add_co_u32 v16, s2, v11, v3
	s_wait_alu 0xfffd
	v_add_co_ci_u32_e64 v1, null, v12, v6, vcc_lo
	s_wait_alu 0xf1ff
	v_add_co_ci_u32_e64 v3, null, v12, v7, s0
	v_add_co_ci_u32_e64 v5, null, v12, v8, s1
	;; [unrolled: 1-line block ×3, first 2 shown]
	s_clause 0x3
	flat_load_b128 v[12:15], v[0:1]
	flat_load_b128 v[8:11], v[2:3]
	;; [unrolled: 1-line block ×4, first 2 shown]
	;;#ASMSTART
	v_cvt_off_f32_i4 v48, v48
	;;#ASMEND
	;;#ASMSTART
	v_cvt_off_f32_i4 v80, v18
	;;#ASMEND
	;; [unrolled: 3-line block ×32, first 2 shown]
	scratch_load_b128 v[16:19], off, s33 offset:320
	v_dual_mov_b32 v20, v100 :: v_dual_mov_b32 v21, v100
	v_dual_mov_b32 v22, v100 :: v_dual_mov_b32 v23, v100
	;; [unrolled: 1-line block ×4, first 2 shown]
	s_delay_alu instid0(VALU_DEP_4)
	v_cvt_pk_fp8_f32 v20, v48, v80
	v_cvt_pk_fp8_f32 v21, v81, v82
	;; [unrolled: 1-line block ×8, first 2 shown]
	v_cvt_pk_fp8_f32 v20, v83, v84 op_sel:[0,0,1]
	v_cvt_pk_fp8_f32 v21, v85, v86 op_sel:[0,0,1]
	;; [unrolled: 1-line block ×8, first 2 shown]
	s_clause 0x1
	scratch_store_b128 off, v[20:23], s33 offset:768
	scratch_store_b128 off, v[24:27], s33 offset:784
	s_wait_loadcnt 0x0
	;;#ASMSTART
	v_cvt_off_f32_i4 v28, v16
	;;#ASMEND
	v_ashrrev_i32_e32 v20, 16, v16
	v_ashrrev_i32_e32 v21, 8, v16
	;; [unrolled: 1-line block ×28, first 2 shown]
	;;#ASMSTART
	v_cvt_off_f32_i4 v70, v20
	;;#ASMEND
	;;#ASMSTART
	v_cvt_off_f32_i4 v71, v21
	;;#ASMEND
	;;#ASMSTART
	v_cvt_off_f32_i4 v80, v22
	;;#ASMEND
	;;#ASMSTART
	v_cvt_off_f32_i4 v81, v23
	;;#ASMEND
	;;#ASMSTART
	v_cvt_off_f32_i4 v82, v24
	;;#ASMEND
	;;#ASMSTART
	v_cvt_off_f32_i4 v83, v25
	;;#ASMEND
	;;#ASMSTART
	v_cvt_off_f32_i4 v84, v16
	;;#ASMEND
	;;#ASMSTART
	v_cvt_off_f32_i4 v85, v17
	;;#ASMEND
	;;#ASMSTART
	v_cvt_off_f32_i4 v86, v26
	;;#ASMEND
	;;#ASMSTART
	v_cvt_off_f32_i4 v87, v27
	;;#ASMEND
	;;#ASMSTART
	v_cvt_off_f32_i4 v29, v29
	;;#ASMEND
	;;#ASMSTART
	v_cvt_off_f32_i4 v30, v30
	;;#ASMEND
	;;#ASMSTART
	v_cvt_off_f32_i4 v31, v31
	;;#ASMEND
	;;#ASMSTART
	v_cvt_off_f32_i4 v32, v32
	;;#ASMEND
	;;#ASMSTART
	v_cvt_off_f32_i4 v33, v33
	;;#ASMEND
	;;#ASMSTART
	v_cvt_off_f32_i4 v96, v18
	;;#ASMEND
	;;#ASMSTART
	v_cvt_off_f32_i4 v34, v34
	;;#ASMEND
	;;#ASMSTART
	v_cvt_off_f32_i4 v35, v35
	;;#ASMEND
	;;#ASMSTART
	v_cvt_off_f32_i4 v36, v36
	;;#ASMEND
	;;#ASMSTART
	v_cvt_off_f32_i4 v37, v37
	;;#ASMEND
	;;#ASMSTART
	v_cvt_off_f32_i4 v38, v38
	;;#ASMEND
	;;#ASMSTART
	v_cvt_off_f32_i4 v39, v39
	;;#ASMEND
	;;#ASMSTART
	v_cvt_off_f32_i4 v48, v48
	;;#ASMEND
	;;#ASMSTART
	v_cvt_off_f32_i4 v97, v19
	;;#ASMEND
	;;#ASMSTART
	v_cvt_off_f32_i4 v49, v49
	;;#ASMEND
	;;#ASMSTART
	v_cvt_off_f32_i4 v50, v50
	;;#ASMEND
	;;#ASMSTART
	v_cvt_off_f32_i4 v51, v51
	;;#ASMEND
	;;#ASMSTART
	v_cvt_off_f32_i4 v66, v66
	;;#ASMEND
	;;#ASMSTART
	v_cvt_off_f32_i4 v67, v67
	;;#ASMEND
	;;#ASMSTART
	v_cvt_off_f32_i4 v68, v68
	;;#ASMEND
	;;#ASMSTART
	v_cvt_off_f32_i4 v69, v69
	;;#ASMEND
	scratch_load_b128 v[16:19], off, s33 offset:384
	v_dual_mov_b32 v20, v100 :: v_dual_mov_b32 v21, v100
	v_dual_mov_b32 v22, v100 :: v_dual_mov_b32 v23, v100
	;; [unrolled: 1-line block ×4, first 2 shown]
	s_delay_alu instid0(VALU_DEP_4)
	v_cvt_pk_fp8_f32 v20, v28, v70
	v_cvt_pk_fp8_f32 v21, v71, v80
	;; [unrolled: 1-line block ×8, first 2 shown]
	v_cvt_pk_fp8_f32 v20, v81, v82 op_sel:[0,0,1]
	v_cvt_pk_fp8_f32 v21, v83, v84 op_sel:[0,0,1]
	;; [unrolled: 1-line block ×8, first 2 shown]
	s_clause 0x1
	scratch_store_b128 off, v[20:23], s33 offset:832
	scratch_store_b128 off, v[24:27], s33 offset:848
	s_wait_loadcnt 0x0
	;;#ASMSTART
	v_cvt_off_f32_i4 v28, v16
	;;#ASMEND
	v_ashrrev_i32_e32 v20, 16, v16
	v_ashrrev_i32_e32 v21, 8, v16
	;; [unrolled: 1-line block ×28, first 2 shown]
	;;#ASMSTART
	v_cvt_off_f32_i4 v70, v20
	;;#ASMEND
	;;#ASMSTART
	v_cvt_off_f32_i4 v71, v21
	;;#ASMEND
	;; [unrolled: 3-line block ×31, first 2 shown]
	scratch_load_b128 v[16:19], off, s33 offset:448
	v_dual_mov_b32 v20, v100 :: v_dual_mov_b32 v21, v100
	v_dual_mov_b32 v22, v100 :: v_dual_mov_b32 v23, v100
	;; [unrolled: 1-line block ×4, first 2 shown]
	s_delay_alu instid0(VALU_DEP_4)
	v_cvt_pk_fp8_f32 v20, v28, v70
	v_cvt_pk_fp8_f32 v21, v71, v80
	;; [unrolled: 1-line block ×8, first 2 shown]
	v_cvt_pk_fp8_f32 v20, v81, v82 op_sel:[0,0,1]
	v_cvt_pk_fp8_f32 v21, v83, v84 op_sel:[0,0,1]
	v_cvt_pk_fp8_f32 v22, v30, v31 op_sel:[0,0,1]
	v_cvt_pk_fp8_f32 v23, v32, v33 op_sel:[0,0,1]
	v_cvt_pk_fp8_f32 v24, v37, v38 op_sel:[0,0,1]
	v_cvt_pk_fp8_f32 v25, v39, v48 op_sel:[0,0,1]
	v_cvt_pk_fp8_f32 v26, v66, v67 op_sel:[0,0,1]
	v_cvt_pk_fp8_f32 v27, v68, v69 op_sel:[0,0,1]
	s_clause 0x1
	scratch_store_b128 off, v[20:23], s33 offset:896
	scratch_store_b128 off, v[24:27], s33 offset:912
	s_wait_loadcnt 0x0
	;;#ASMSTART
	v_cvt_off_f32_i4 v28, v16
	;;#ASMEND
	v_ashrrev_i32_e32 v20, 16, v16
	v_ashrrev_i32_e32 v21, 8, v16
	;; [unrolled: 1-line block ×28, first 2 shown]
	;;#ASMSTART
	v_cvt_off_f32_i4 v70, v20
	;;#ASMEND
	;;#ASMSTART
	v_cvt_off_f32_i4 v71, v21
	;;#ASMEND
	;; [unrolled: 3-line block ×31, first 2 shown]
	scratch_load_b128 v[16:19], off, s33 offset:480
	v_dual_mov_b32 v20, v100 :: v_dual_mov_b32 v21, v100
	v_dual_mov_b32 v22, v100 :: v_dual_mov_b32 v23, v100
	;; [unrolled: 1-line block ×4, first 2 shown]
	s_delay_alu instid0(VALU_DEP_4)
	v_cvt_pk_fp8_f32 v20, v28, v70
	v_cvt_pk_fp8_f32 v21, v71, v80
	;; [unrolled: 1-line block ×8, first 2 shown]
	v_cvt_pk_fp8_f32 v20, v81, v82 op_sel:[0,0,1]
	v_cvt_pk_fp8_f32 v21, v83, v84 op_sel:[0,0,1]
	;; [unrolled: 1-line block ×8, first 2 shown]
	s_clause 0x1
	scratch_store_b128 off, v[20:23], s33 offset:960
	scratch_store_b128 off, v[24:27], s33 offset:976
	s_wait_loadcnt 0x0
	;;#ASMSTART
	v_cvt_off_f32_i4 v28, v16
	;;#ASMEND
	v_ashrrev_i32_e32 v20, 16, v16
	v_ashrrev_i32_e32 v21, 8, v16
	;; [unrolled: 1-line block ×28, first 2 shown]
	;;#ASMSTART
	v_cvt_off_f32_i4 v70, v20
	;;#ASMEND
	;;#ASMSTART
	v_cvt_off_f32_i4 v71, v21
	;;#ASMEND
	;; [unrolled: 3-line block ×31, first 2 shown]
	scratch_load_b128 v[16:19], off, s33 offset:416
	v_dual_mov_b32 v20, v100 :: v_dual_mov_b32 v21, v100
	v_dual_mov_b32 v22, v100 :: v_dual_mov_b32 v23, v100
	;; [unrolled: 1-line block ×4, first 2 shown]
	s_delay_alu instid0(VALU_DEP_4)
	v_cvt_pk_fp8_f32 v20, v28, v70
	v_cvt_pk_fp8_f32 v21, v71, v80
	;; [unrolled: 1-line block ×8, first 2 shown]
	v_cvt_pk_fp8_f32 v20, v81, v82 op_sel:[0,0,1]
	v_cvt_pk_fp8_f32 v21, v83, v84 op_sel:[0,0,1]
	;; [unrolled: 1-line block ×8, first 2 shown]
	s_clause 0x1
	scratch_store_b128 off, v[20:23], s33 offset:992
	scratch_store_b128 off, v[24:27], s33 offset:1008
	s_wait_loadcnt 0x0
	;;#ASMSTART
	v_cvt_off_f32_i4 v28, v16
	;;#ASMEND
	v_ashrrev_i32_e32 v20, 16, v16
	v_ashrrev_i32_e32 v21, 8, v16
	v_ashrrev_i32_e32 v22, 24, v16
	v_ashrrev_i32_e32 v23, 4, v16
	v_ashrrev_i32_e32 v24, 20, v16
	v_ashrrev_i32_e32 v25, 12, v16
	v_ashrrev_i32_e32 v16, 28, v16
	v_ashrrev_i32_e32 v29, 24, v17
	v_ashrrev_i32_e32 v30, 4, v17
	v_ashrrev_i32_e32 v31, 20, v17
	v_ashrrev_i32_e32 v32, 12, v17
	v_ashrrev_i32_e32 v33, 28, v17
	v_ashrrev_i32_e32 v34, 16, v18
	v_ashrrev_i32_e32 v35, 8, v18
	v_ashrrev_i32_e32 v36, 24, v18
	v_ashrrev_i32_e32 v37, 4, v18
	v_ashrrev_i32_e32 v38, 20, v18
	v_ashrrev_i32_e32 v39, 12, v18
	v_ashrrev_i32_e32 v48, 28, v18
	v_ashrrev_i32_e32 v49, 16, v19
	v_ashrrev_i32_e32 v50, 8, v19
	v_ashrrev_i32_e32 v51, 24, v19
	v_ashrrev_i32_e32 v66, 4, v19
	v_ashrrev_i32_e32 v67, 20, v19
	v_ashrrev_i32_e32 v68, 12, v19
	v_ashrrev_i32_e32 v69, 28, v19
	v_ashrrev_i32_e32 v26, 16, v17
	v_ashrrev_i32_e32 v27, 8, v17
	;;#ASMSTART
	v_cvt_off_f32_i4 v70, v20
	;;#ASMEND
	;;#ASMSTART
	v_cvt_off_f32_i4 v71, v21
	;;#ASMEND
	;; [unrolled: 3-line block ×31, first 2 shown]
	scratch_load_b128 v[16:19], off, s33 offset:352
	v_dual_mov_b32 v20, v100 :: v_dual_mov_b32 v21, v100
	v_dual_mov_b32 v22, v100 :: v_dual_mov_b32 v23, v100
	;; [unrolled: 1-line block ×4, first 2 shown]
	s_delay_alu instid0(VALU_DEP_4)
	v_cvt_pk_fp8_f32 v20, v28, v70
	v_cvt_pk_fp8_f32 v21, v71, v80
	v_cvt_pk_fp8_f32 v22, v85, v86
	v_cvt_pk_fp8_f32 v23, v87, v29
	v_cvt_pk_fp8_f32 v24, v96, v34
	v_cvt_pk_fp8_f32 v25, v35, v36
	v_cvt_pk_fp8_f32 v26, v97, v49
	v_cvt_pk_fp8_f32 v27, v50, v51
	v_cvt_pk_fp8_f32 v20, v81, v82 op_sel:[0,0,1]
	v_cvt_pk_fp8_f32 v21, v83, v84 op_sel:[0,0,1]
	;; [unrolled: 1-line block ×8, first 2 shown]
	s_clause 0x1
	scratch_store_b128 off, v[20:23], s33 offset:928
	scratch_store_b128 off, v[24:27], s33 offset:944
	s_wait_loadcnt 0x0
	;;#ASMSTART
	v_cvt_off_f32_i4 v33, v16
	;;#ASMEND
	v_ashrrev_i32_e32 v20, 16, v16
	v_ashrrev_i32_e32 v21, 8, v16
	;; [unrolled: 1-line block ×28, first 2 shown]
	;;#ASMSTART
	v_cvt_off_f32_i4 v70, v20
	;;#ASMEND
	;;#ASMSTART
	v_cvt_off_f32_i4 v71, v21
	;;#ASMEND
	;; [unrolled: 3-line block ×31, first 2 shown]
	scratch_load_b128 v[16:19], off, s33 offset:288
	v_dual_mov_b32 v20, v100 :: v_dual_mov_b32 v21, v100
	v_dual_mov_b32 v22, v100 :: v_dual_mov_b32 v23, v100
	;; [unrolled: 1-line block ×4, first 2 shown]
	s_delay_alu instid0(VALU_DEP_4)
	v_cvt_pk_fp8_f32 v20, v33, v70
	v_cvt_pk_fp8_f32 v21, v71, v80
	;; [unrolled: 1-line block ×8, first 2 shown]
	v_cvt_pk_fp8_f32 v20, v81, v82 op_sel:[0,0,1]
	v_cvt_pk_fp8_f32 v21, v83, v84 op_sel:[0,0,1]
	;; [unrolled: 1-line block ×8, first 2 shown]
	v_dual_mov_b32 v28, v100 :: v_dual_mov_b32 v29, v100
	v_dual_mov_b32 v30, v100 :: v_dual_mov_b32 v31, v100
	;; [unrolled: 1-line block ×4, first 2 shown]
	s_clause 0x1
	scratch_store_b128 off, v[20:23], s33 offset:864
	scratch_store_b128 off, v[24:27], s33 offset:880
	s_wait_loadcnt 0x0
	;;#ASMSTART
	v_cvt_off_f32_i4 v20, v16
	;;#ASMEND
	v_ashrrev_i32_e32 v21, 16, v16
	v_ashrrev_i32_e32 v22, 8, v16
	;; [unrolled: 1-line block ×28, first 2 shown]
	;;#ASMSTART
	v_cvt_off_f32_i4 v21, v21
	;;#ASMEND
	;;#ASMSTART
	v_cvt_off_f32_i4 v22, v22
	;;#ASMEND
	;; [unrolled: 3-line block ×27, first 2 shown]
	v_cvt_pk_fp8_f32 v28, v20, v21
	v_cvt_pk_fp8_f32 v29, v22, v23
	;; [unrolled: 1-line block ×8, first 2 shown]
	;;#ASMSTART
	v_cvt_off_f32_i4 v82, v82
	;;#ASMEND
	;;#ASMSTART
	v_cvt_off_f32_i4 v83, v83
	;;#ASMEND
	;; [unrolled: 3-line block ×4, first 2 shown]
	v_cvt_pk_fp8_f32 v28, v24, v25 op_sel:[0,0,1]
	v_cvt_pk_fp8_f32 v29, v26, v16 op_sel:[0,0,1]
	;; [unrolled: 1-line block ×8, first 2 shown]
	s_clause 0x1
	scratch_store_b128 off, v[28:31], s33 offset:800
	scratch_store_b128 off, v[32:35], s33 offset:816
	; sched_barrier mask(0x00000000)
	scratch_load_b128 v[48:51], off, s33 offset:768
	s_clause 0x1
	flat_load_b128 v[20:23], v[52:53] offset:656
	flat_load_b128 v[16:19], v[52:53] offset:640
	scratch_load_b128 v[66:69], off, s33 offset:832
	s_clause 0x1
	flat_load_b128 v[28:31], v[52:53] offset:688
	flat_load_b128 v[24:27], v[52:53] offset:672
	s_clause 0x2
	scratch_load_b128 v[96:99], off, s33 offset:784
	scratch_load_b128 v[112:115], off, s33 offset:848
	;; [unrolled: 1-line block ×3, first 2 shown]
	s_clause 0x1
	flat_load_b128 v[36:39], v[52:53] offset:720
	flat_load_b128 v[32:35], v[52:53] offset:704
	scratch_load_b128 v[128:131], off, s33 offset:960
	s_clause 0x1
	flat_load_b128 v[84:87], v[52:53] offset:752
	flat_load_b128 v[80:83], v[52:53] offset:736
	s_clause 0x2
	scratch_load_b128 v[132:135], off, s33 offset:912
	scratch_load_b128 v[144:147], off, s33 offset:976
	;; [unrolled: 1-line block ×3, first 2 shown]
	s_wait_loadcnt_dscnt 0xe06
	v_wmma_f32_16x16x16_fp8_fp8 v[16:23], v[12:13], v[48:49], v[16:23]
	s_wait_loadcnt_dscnt 0xb04
	v_wmma_f32_16x16x16_fp8_fp8 v[24:31], v[12:13], v[66:67], v[24:31]
	s_delay_alu instid0(VALU_DEP_2)
	v_wmma_f32_16x16x16_fp8_fp8 v[16:23], v[14:15], v[50:51], v[16:23]
	scratch_load_b128 v[48:51], off, s33 offset:864
	v_wmma_f32_16x16x16_fp8_fp8 v[24:31], v[14:15], v[68:69], v[24:31]
	scratch_load_b128 v[66:69], off, s33 offset:816
	s_wait_loadcnt 0xc
	v_wmma_f32_16x16x16_fp8_fp8 v[16:23], v[8:9], v[96:97], v[16:23]
	s_wait_loadcnt 0xb
	v_wmma_f32_16x16x16_fp8_fp8 v[24:31], v[8:9], v[112:113], v[24:31]
	s_delay_alu instid0(VALU_DEP_2)
	v_wmma_f32_16x16x16_fp8_fp8 v[16:23], v[10:11], v[98:99], v[16:23]
	scratch_load_b128 v[96:99], off, s33 offset:880
	v_wmma_f32_16x16x16_fp8_fp8 v[24:31], v[10:11], v[114:115], v[24:31]
	s_wait_loadcnt_dscnt 0x902
	v_wmma_f32_16x16x16_fp8_fp8 v[32:39], v[12:13], v[116:117], v[32:39]
	scratch_load_b128 v[112:115], off, s33 offset:928
	s_wait_loadcnt_dscnt 0x700
	v_wmma_f32_16x16x16_fp8_fp8 v[80:87], v[12:13], v[128:129], v[80:87]
	; sched_group_barrier mask(0x00000008) size(8) SyncID(0)
	; sched_group_barrier mask(0x00000100) size(1) SyncID(0)
	v_wmma_f32_16x16x16_fp8_fp8 v[32:39], v[14:15], v[118:119], v[32:39]
	scratch_load_b128 v[116:119], off, s33 offset:992
	v_wmma_f32_16x16x16_fp8_fp8 v[80:87], v[14:15], v[130:131], v[80:87]
	s_clause 0x1
	scratch_load_b128 v[12:15], off, s33 offset:944
	scratch_load_b128 v[128:131], off, s33 offset:1008
	s_wait_loadcnt 0x9
	v_wmma_f32_16x16x16_fp8_fp8 v[32:39], v[8:9], v[132:133], v[32:39]
	s_wait_loadcnt 0x8
	v_wmma_f32_16x16x16_fp8_fp8 v[80:87], v[8:9], v[144:145], v[80:87]
	s_delay_alu instid0(VALU_DEP_2) | instskip(NEXT) | instid1(VALU_DEP_2)
	v_wmma_f32_16x16x16_fp8_fp8 v[32:39], v[10:11], v[134:135], v[32:39]
	v_wmma_f32_16x16x16_fp8_fp8 v[80:87], v[10:11], v[146:147], v[80:87]
	s_wait_loadcnt 0x7
	v_wmma_f32_16x16x16_fp8_fp8 v[16:23], v[4:5], v[148:149], v[16:23]
	; sched_group_barrier mask(0x00000008) size(8) SyncID(0)
	; sched_group_barrier mask(0x00000100) size(1) SyncID(0)
	s_delay_alu instid0(VALU_DEP_1) | instskip(SKIP_3) | instid1(VALU_DEP_2)
	v_wmma_f32_16x16x16_fp8_fp8 v[16:23], v[6:7], v[150:151], v[16:23]
	s_wait_loadcnt 0x6
	v_wmma_f32_16x16x16_fp8_fp8 v[24:31], v[4:5], v[48:49], v[24:31]
	s_wait_loadcnt 0x5
	v_wmma_f32_16x16x16_fp8_fp8 v[16:23], v[0:1], v[66:67], v[16:23]
	s_delay_alu instid0(VALU_DEP_2)
	v_wmma_f32_16x16x16_fp8_fp8 v[24:31], v[6:7], v[50:51], v[24:31]
	scratch_load_b128 v[48:51], off, s33 offset:256
	v_wmma_f32_16x16x16_fp8_fp8 v[16:23], v[2:3], v[68:69], v[16:23]
	s_wait_loadcnt 0x5
	v_wmma_f32_16x16x16_fp8_fp8 v[24:31], v[0:1], v[96:97], v[24:31]
	s_clause 0x1
	flat_store_b128 v[52:53], v[16:19] offset:640
	flat_store_b128 v[52:53], v[20:23] offset:656
	v_wmma_f32_16x16x16_fp8_fp8 v[24:31], v[2:3], v[98:99], v[24:31]
	s_wait_loadcnt 0x4
	v_wmma_f32_16x16x16_fp8_fp8 v[32:39], v[4:5], v[112:113], v[32:39]
	; sched_group_barrier mask(0x00000008) size(8) SyncID(0)
	; sched_group_barrier mask(0x00000100) size(1) SyncID(0)
	s_wait_loadcnt 0x3
	v_wmma_f32_16x16x16_fp8_fp8 v[80:87], v[4:5], v[116:117], v[80:87]
	flat_store_b128 v[52:53], v[24:27] offset:672
	v_wmma_f32_16x16x16_fp8_fp8 v[32:39], v[6:7], v[114:115], v[32:39]
	flat_store_b128 v[52:53], v[28:31] offset:688
	v_wmma_f32_16x16x16_fp8_fp8 v[80:87], v[6:7], v[118:119], v[80:87]
	s_wait_loadcnt 0x2
	v_wmma_f32_16x16x16_fp8_fp8 v[32:39], v[0:1], v[12:13], v[32:39]
	s_wait_loadcnt 0x1
	s_delay_alu instid0(VALU_DEP_2) | instskip(NEXT) | instid1(VALU_DEP_2)
	v_wmma_f32_16x16x16_fp8_fp8 v[80:87], v[0:1], v[128:129], v[80:87]
	v_wmma_f32_16x16x16_fp8_fp8 v[32:39], v[2:3], v[14:15], v[32:39]
	s_delay_alu instid0(VALU_DEP_2)
	v_wmma_f32_16x16x16_fp8_fp8 v[80:87], v[2:3], v[130:131], v[80:87]
	; sched_group_barrier mask(0x00000008) size(8) SyncID(0)
	; sched_group_barrier mask(0x00000100) size(1) SyncID(0)
	s_clause 0x3
	flat_store_b128 v[52:53], v[36:39] offset:720
	flat_store_b128 v[52:53], v[32:35] offset:704
	;; [unrolled: 1-line block ×4, first 2 shown]
	s_clause 0x3
	flat_load_b64 v[7:8], v[64:65] offset:1148
	flat_load_b64 v[9:10], v[64:65] offset:1164
	flat_load_b128 v[0:3], v[64:65] offset:1176
	flat_load_b96 v[4:6], v[64:65] offset:1132
	flat_load_b64 v[11:12], v[54:55] offset:16
	s_wait_loadcnt 0x5
	v_ashrrev_i32_e32 v18, 16, v48
	v_ashrrev_i32_e32 v19, 8, v48
	;; [unrolled: 1-line block ×27, first 2 shown]
	s_wait_loadcnt_dscnt 0x303
	v_sub_nc_u32_e32 v7, v7, v10
	s_wait_loadcnt_dscnt 0x202
	v_add_nc_u32_e32 v13, 16, v3
	v_add_nc_u32_e32 v0, v9, v0
	v_sub_nc_u32_e32 v10, v8, v9
	s_wait_loadcnt_dscnt 0x101
	v_sub_nc_u32_e32 v2, v4, v2
	v_add3_u32 v1, v7, v1, 0xc0
	v_add_nc_u32_e32 v7, 64, v3
	v_add_nc_u32_e32 v3, 0x50, v3
	v_ashrrev_i32_e32 v9, 31, v13
	v_sub_nc_u32_e32 v0, v8, v0
	v_ashrrev_i32_e32 v8, 31, v1
	v_ashrrev_i32_e32 v14, 31, v7
	;; [unrolled: 1-line block ×3, first 2 shown]
	v_lshrrev_b32_e32 v9, 28, v9
	v_sub_nc_u32_e32 v6, v1, v6
	v_lshrrev_b32_e32 v8, 29, v8
	v_lshrrev_b32_e32 v14, 28, v14
	;; [unrolled: 1-line block ×3, first 2 shown]
	v_add_nc_u32_e32 v9, v13, v9
	v_lshlrev_b32_e32 v6, 7, v6
	v_add_nc_u32_e32 v8, v1, v8
	v_add_nc_u32_e32 v14, v7, v14
	;; [unrolled: 1-line block ×3, first 2 shown]
	v_lshrrev_b32_e32 v16, 4, v9
	v_and_b32_e32 v9, -16, v9
	v_and_b32_e32 v8, -8, v8
	v_lshrrev_b32_e32 v17, 4, v14
	v_lshrrev_b32_e32 v70, 4, v15
	v_and_b32_e32 v14, -16, v14
	v_sub_nc_u32_e32 v9, v13, v9
	v_sub_nc_u32_e32 v1, v1, v8
	v_and_b32_e32 v8, -16, v15
	v_add_nc_u32_e32 v15, v16, v0
	v_add_nc_u32_e32 v16, v17, v0
	;; [unrolled: 1-line block ×3, first 2 shown]
	v_xor_b32_e32 v10, v1, v10
	v_add_nc_u32_e32 v2, v2, v6
	v_xor_b32_e32 v13, v15, v1
	v_xor_b32_e32 v15, v16, v1
	;; [unrolled: 1-line block ×3, first 2 shown]
	v_sub_nc_u32_e32 v1, v10, v5
	v_sub_nc_u32_e32 v7, v7, v14
	;; [unrolled: 1-line block ×5, first 2 shown]
	v_lshlrev_b32_e32 v1, 4, v1
	v_sub_nc_u32_e32 v3, v3, v8
	v_lshlrev_b32_e32 v5, 4, v10
	v_lshlrev_b32_e32 v8, 4, v13
	;; [unrolled: 1-line block ×3, first 2 shown]
	v_add3_u32 v1, v6, v4, v1
	v_ashrrev_i32_e32 v70, 12, v51
	v_add3_u32 v4, v9, v2, v5
	v_add3_u32 v5, v7, v2, v8
	v_add3_u32 v3, v3, v2, v0
	v_ashrrev_i32_e32 v6, 31, v1
	s_wait_loadcnt_dscnt 0x0
	v_add_co_u32 v0, vcc_lo, v11, v1
	v_ashrrev_i32_e32 v7, 31, v4
	v_ashrrev_i32_e32 v8, 31, v5
	v_ashrrev_i32_e32 v9, 31, v3
	v_add_co_u32 v2, s0, v11, v4
	v_add_co_u32 v4, s1, v11, v5
	;; [unrolled: 1-line block ×3, first 2 shown]
	s_wait_alu 0xfffd
	v_add_co_ci_u32_e64 v1, null, v12, v6, vcc_lo
	s_wait_alu 0xf1ff
	v_add_co_ci_u32_e64 v3, null, v12, v7, s0
	v_add_co_ci_u32_e64 v5, null, v12, v8, s1
	;; [unrolled: 1-line block ×3, first 2 shown]
	s_clause 0x3
	flat_load_b128 v[12:15], v[0:1]
	flat_load_b128 v[8:11], v[2:3]
	;; [unrolled: 1-line block ×4, first 2 shown]
	;;#ASMSTART
	v_cvt_off_f32_i4 v48, v48
	;;#ASMEND
	;;#ASMSTART
	v_cvt_off_f32_i4 v80, v18
	;;#ASMEND
	;; [unrolled: 3-line block ×32, first 2 shown]
	scratch_load_b128 v[16:19], off, s33 offset:320
	v_dual_mov_b32 v20, v100 :: v_dual_mov_b32 v21, v100
	v_dual_mov_b32 v22, v100 :: v_dual_mov_b32 v23, v100
	;; [unrolled: 1-line block ×4, first 2 shown]
	s_delay_alu instid0(VALU_DEP_4)
	v_cvt_pk_fp8_f32 v20, v48, v80
	v_cvt_pk_fp8_f32 v21, v81, v82
	;; [unrolled: 1-line block ×8, first 2 shown]
	v_cvt_pk_fp8_f32 v20, v83, v84 op_sel:[0,0,1]
	v_cvt_pk_fp8_f32 v21, v85, v86 op_sel:[0,0,1]
	;; [unrolled: 1-line block ×8, first 2 shown]
	s_clause 0x1
	scratch_store_b128 off, v[20:23], s33 offset:768
	scratch_store_b128 off, v[24:27], s33 offset:784
	s_wait_loadcnt 0x0
	;;#ASMSTART
	v_cvt_off_f32_i4 v28, v16
	;;#ASMEND
	v_ashrrev_i32_e32 v20, 16, v16
	v_ashrrev_i32_e32 v21, 8, v16
	;; [unrolled: 1-line block ×28, first 2 shown]
	;;#ASMSTART
	v_cvt_off_f32_i4 v70, v20
	;;#ASMEND
	;;#ASMSTART
	v_cvt_off_f32_i4 v71, v21
	;;#ASMEND
	;; [unrolled: 3-line block ×31, first 2 shown]
	scratch_load_b128 v[16:19], off, s33 offset:384
	v_dual_mov_b32 v20, v100 :: v_dual_mov_b32 v21, v100
	v_dual_mov_b32 v22, v100 :: v_dual_mov_b32 v23, v100
	;; [unrolled: 1-line block ×4, first 2 shown]
	s_delay_alu instid0(VALU_DEP_4)
	v_cvt_pk_fp8_f32 v20, v28, v70
	v_cvt_pk_fp8_f32 v21, v71, v80
	;; [unrolled: 1-line block ×8, first 2 shown]
	v_cvt_pk_fp8_f32 v20, v81, v82 op_sel:[0,0,1]
	v_cvt_pk_fp8_f32 v21, v83, v84 op_sel:[0,0,1]
	;; [unrolled: 1-line block ×8, first 2 shown]
	s_clause 0x1
	scratch_store_b128 off, v[20:23], s33 offset:832
	scratch_store_b128 off, v[24:27], s33 offset:848
	s_wait_loadcnt 0x0
	;;#ASMSTART
	v_cvt_off_f32_i4 v28, v16
	;;#ASMEND
	v_ashrrev_i32_e32 v20, 16, v16
	v_ashrrev_i32_e32 v21, 8, v16
	;; [unrolled: 1-line block ×28, first 2 shown]
	;;#ASMSTART
	v_cvt_off_f32_i4 v70, v20
	;;#ASMEND
	;;#ASMSTART
	v_cvt_off_f32_i4 v71, v21
	;;#ASMEND
	;; [unrolled: 3-line block ×31, first 2 shown]
	scratch_load_b128 v[16:19], off, s33 offset:448
	v_dual_mov_b32 v20, v100 :: v_dual_mov_b32 v21, v100
	v_dual_mov_b32 v22, v100 :: v_dual_mov_b32 v23, v100
	;; [unrolled: 1-line block ×4, first 2 shown]
	s_delay_alu instid0(VALU_DEP_4)
	v_cvt_pk_fp8_f32 v20, v28, v70
	v_cvt_pk_fp8_f32 v21, v71, v80
	;; [unrolled: 1-line block ×8, first 2 shown]
	v_cvt_pk_fp8_f32 v20, v81, v82 op_sel:[0,0,1]
	v_cvt_pk_fp8_f32 v21, v83, v84 op_sel:[0,0,1]
	;; [unrolled: 1-line block ×8, first 2 shown]
	s_clause 0x1
	scratch_store_b128 off, v[20:23], s33 offset:896
	scratch_store_b128 off, v[24:27], s33 offset:912
	s_wait_loadcnt 0x0
	;;#ASMSTART
	v_cvt_off_f32_i4 v28, v16
	;;#ASMEND
	v_ashrrev_i32_e32 v20, 16, v16
	v_ashrrev_i32_e32 v21, 8, v16
	;; [unrolled: 1-line block ×28, first 2 shown]
	;;#ASMSTART
	v_cvt_off_f32_i4 v70, v20
	;;#ASMEND
	;;#ASMSTART
	v_cvt_off_f32_i4 v71, v21
	;;#ASMEND
	;; [unrolled: 3-line block ×31, first 2 shown]
	scratch_load_b128 v[16:19], off, s33 offset:480
	v_dual_mov_b32 v20, v100 :: v_dual_mov_b32 v21, v100
	v_dual_mov_b32 v22, v100 :: v_dual_mov_b32 v23, v100
	;; [unrolled: 1-line block ×4, first 2 shown]
	s_delay_alu instid0(VALU_DEP_4)
	v_cvt_pk_fp8_f32 v20, v28, v70
	v_cvt_pk_fp8_f32 v21, v71, v80
	;; [unrolled: 1-line block ×8, first 2 shown]
	v_cvt_pk_fp8_f32 v20, v81, v82 op_sel:[0,0,1]
	v_cvt_pk_fp8_f32 v21, v83, v84 op_sel:[0,0,1]
	;; [unrolled: 1-line block ×8, first 2 shown]
	s_clause 0x1
	scratch_store_b128 off, v[20:23], s33 offset:960
	scratch_store_b128 off, v[24:27], s33 offset:976
	s_wait_loadcnt 0x0
	;;#ASMSTART
	v_cvt_off_f32_i4 v28, v16
	;;#ASMEND
	v_ashrrev_i32_e32 v20, 16, v16
	v_ashrrev_i32_e32 v21, 8, v16
	;; [unrolled: 1-line block ×28, first 2 shown]
	;;#ASMSTART
	v_cvt_off_f32_i4 v70, v20
	;;#ASMEND
	;;#ASMSTART
	v_cvt_off_f32_i4 v71, v21
	;;#ASMEND
	;; [unrolled: 3-line block ×31, first 2 shown]
	scratch_load_b128 v[16:19], off, s33 offset:416
	v_dual_mov_b32 v20, v100 :: v_dual_mov_b32 v21, v100
	v_dual_mov_b32 v22, v100 :: v_dual_mov_b32 v23, v100
	;; [unrolled: 1-line block ×4, first 2 shown]
	s_delay_alu instid0(VALU_DEP_4)
	v_cvt_pk_fp8_f32 v20, v28, v70
	v_cvt_pk_fp8_f32 v21, v71, v80
	;; [unrolled: 1-line block ×8, first 2 shown]
	v_cvt_pk_fp8_f32 v20, v81, v82 op_sel:[0,0,1]
	v_cvt_pk_fp8_f32 v21, v83, v84 op_sel:[0,0,1]
	v_cvt_pk_fp8_f32 v22, v30, v31 op_sel:[0,0,1]
	v_cvt_pk_fp8_f32 v23, v32, v33 op_sel:[0,0,1]
	v_cvt_pk_fp8_f32 v24, v37, v38 op_sel:[0,0,1]
	v_cvt_pk_fp8_f32 v25, v39, v48 op_sel:[0,0,1]
	v_cvt_pk_fp8_f32 v26, v66, v67 op_sel:[0,0,1]
	v_cvt_pk_fp8_f32 v27, v68, v69 op_sel:[0,0,1]
	s_clause 0x1
	scratch_store_b128 off, v[20:23], s33 offset:992
	scratch_store_b128 off, v[24:27], s33 offset:1008
	s_wait_loadcnt 0x0
	;;#ASMSTART
	v_cvt_off_f32_i4 v28, v16
	;;#ASMEND
	v_ashrrev_i32_e32 v20, 16, v16
	v_ashrrev_i32_e32 v21, 8, v16
	v_ashrrev_i32_e32 v22, 24, v16
	v_ashrrev_i32_e32 v23, 4, v16
	v_ashrrev_i32_e32 v24, 20, v16
	v_ashrrev_i32_e32 v25, 12, v16
	v_ashrrev_i32_e32 v16, 28, v16
	v_ashrrev_i32_e32 v29, 24, v17
	v_ashrrev_i32_e32 v30, 4, v17
	v_ashrrev_i32_e32 v31, 20, v17
	v_ashrrev_i32_e32 v32, 12, v17
	v_ashrrev_i32_e32 v33, 28, v17
	v_ashrrev_i32_e32 v34, 16, v18
	v_ashrrev_i32_e32 v35, 8, v18
	v_ashrrev_i32_e32 v36, 24, v18
	v_ashrrev_i32_e32 v37, 4, v18
	v_ashrrev_i32_e32 v38, 20, v18
	v_ashrrev_i32_e32 v39, 12, v18
	v_ashrrev_i32_e32 v48, 28, v18
	v_ashrrev_i32_e32 v49, 16, v19
	v_ashrrev_i32_e32 v50, 8, v19
	v_ashrrev_i32_e32 v51, 24, v19
	v_ashrrev_i32_e32 v66, 4, v19
	v_ashrrev_i32_e32 v67, 20, v19
	v_ashrrev_i32_e32 v68, 12, v19
	v_ashrrev_i32_e32 v69, 28, v19
	v_ashrrev_i32_e32 v26, 16, v17
	v_ashrrev_i32_e32 v27, 8, v17
	;;#ASMSTART
	v_cvt_off_f32_i4 v70, v20
	;;#ASMEND
	;;#ASMSTART
	v_cvt_off_f32_i4 v71, v21
	;;#ASMEND
	;; [unrolled: 3-line block ×31, first 2 shown]
	scratch_load_b128 v[16:19], off, s33 offset:352
	v_dual_mov_b32 v20, v100 :: v_dual_mov_b32 v21, v100
	v_dual_mov_b32 v22, v100 :: v_dual_mov_b32 v23, v100
	;; [unrolled: 1-line block ×4, first 2 shown]
	s_delay_alu instid0(VALU_DEP_4)
	v_cvt_pk_fp8_f32 v20, v28, v70
	v_cvt_pk_fp8_f32 v21, v71, v80
	;; [unrolled: 1-line block ×8, first 2 shown]
	v_cvt_pk_fp8_f32 v20, v81, v82 op_sel:[0,0,1]
	v_cvt_pk_fp8_f32 v21, v83, v84 op_sel:[0,0,1]
	;; [unrolled: 1-line block ×8, first 2 shown]
	s_clause 0x1
	scratch_store_b128 off, v[20:23], s33 offset:928
	scratch_store_b128 off, v[24:27], s33 offset:944
	s_wait_loadcnt 0x0
	;;#ASMSTART
	v_cvt_off_f32_i4 v33, v16
	;;#ASMEND
	v_ashrrev_i32_e32 v20, 16, v16
	v_ashrrev_i32_e32 v21, 8, v16
	;; [unrolled: 1-line block ×28, first 2 shown]
	;;#ASMSTART
	v_cvt_off_f32_i4 v70, v20
	;;#ASMEND
	;;#ASMSTART
	v_cvt_off_f32_i4 v71, v21
	;;#ASMEND
	;; [unrolled: 3-line block ×31, first 2 shown]
	scratch_load_b128 v[16:19], off, s33 offset:288
	v_dual_mov_b32 v20, v100 :: v_dual_mov_b32 v21, v100
	v_dual_mov_b32 v22, v100 :: v_dual_mov_b32 v23, v100
	;; [unrolled: 1-line block ×4, first 2 shown]
	s_delay_alu instid0(VALU_DEP_4)
	v_cvt_pk_fp8_f32 v20, v33, v70
	v_cvt_pk_fp8_f32 v21, v71, v80
	;; [unrolled: 1-line block ×8, first 2 shown]
	v_cvt_pk_fp8_f32 v20, v81, v82 op_sel:[0,0,1]
	v_cvt_pk_fp8_f32 v21, v83, v84 op_sel:[0,0,1]
	;; [unrolled: 1-line block ×8, first 2 shown]
	v_dual_mov_b32 v28, v100 :: v_dual_mov_b32 v29, v100
	v_dual_mov_b32 v30, v100 :: v_dual_mov_b32 v31, v100
	;; [unrolled: 1-line block ×4, first 2 shown]
	s_clause 0x1
	scratch_store_b128 off, v[20:23], s33 offset:864
	scratch_store_b128 off, v[24:27], s33 offset:880
	s_wait_loadcnt 0x0
	;;#ASMSTART
	v_cvt_off_f32_i4 v20, v16
	;;#ASMEND
	v_ashrrev_i32_e32 v21, 16, v16
	v_ashrrev_i32_e32 v22, 8, v16
	;; [unrolled: 1-line block ×28, first 2 shown]
	;;#ASMSTART
	v_cvt_off_f32_i4 v21, v21
	;;#ASMEND
	;;#ASMSTART
	v_cvt_off_f32_i4 v22, v22
	;;#ASMEND
	;; [unrolled: 3-line block ×27, first 2 shown]
	v_cvt_pk_fp8_f32 v28, v20, v21
	v_cvt_pk_fp8_f32 v29, v22, v23
	v_cvt_pk_fp8_f32 v30, v17, v27
	v_cvt_pk_fp8_f32 v31, v36, v37
	v_cvt_pk_fp8_f32 v32, v18, v50
	v_cvt_pk_fp8_f32 v33, v51, v66
	v_cvt_pk_fp8_f32 v34, v19, v71
	v_cvt_pk_fp8_f32 v35, v80, v81
	;;#ASMSTART
	v_cvt_off_f32_i4 v82, v82
	;;#ASMEND
	;;#ASMSTART
	v_cvt_off_f32_i4 v83, v83
	;;#ASMEND
	;; [unrolled: 3-line block ×4, first 2 shown]
	v_cvt_pk_fp8_f32 v28, v24, v25 op_sel:[0,0,1]
	v_cvt_pk_fp8_f32 v29, v26, v16 op_sel:[0,0,1]
	;; [unrolled: 1-line block ×8, first 2 shown]
	s_clause 0x1
	scratch_store_b128 off, v[28:31], s33 offset:800
	scratch_store_b128 off, v[32:35], s33 offset:816
	; sched_barrier mask(0x00000000)
	scratch_load_b128 v[48:51], off, s33 offset:768
	s_clause 0x1
	flat_load_b128 v[20:23], v[52:53] offset:784
	flat_load_b128 v[16:19], v[52:53] offset:768
	scratch_load_b128 v[66:69], off, s33 offset:832
	s_clause 0x1
	flat_load_b128 v[28:31], v[52:53] offset:816
	flat_load_b128 v[24:27], v[52:53] offset:800
	s_clause 0x2
	scratch_load_b128 v[96:99], off, s33 offset:784
	scratch_load_b128 v[112:115], off, s33 offset:848
	;; [unrolled: 1-line block ×3, first 2 shown]
	s_clause 0x1
	flat_load_b128 v[36:39], v[52:53] offset:848
	flat_load_b128 v[32:35], v[52:53] offset:832
	scratch_load_b128 v[128:131], off, s33 offset:960
	s_clause 0x1
	flat_load_b128 v[84:87], v[52:53] offset:880
	flat_load_b128 v[80:83], v[52:53] offset:864
	s_clause 0x2
	scratch_load_b128 v[132:135], off, s33 offset:912
	scratch_load_b128 v[144:147], off, s33 offset:976
	;; [unrolled: 1-line block ×3, first 2 shown]
	s_wait_loadcnt_dscnt 0xe06
	v_wmma_f32_16x16x16_fp8_fp8 v[16:23], v[12:13], v[48:49], v[16:23]
	s_wait_loadcnt_dscnt 0xb04
	v_wmma_f32_16x16x16_fp8_fp8 v[24:31], v[12:13], v[66:67], v[24:31]
	s_delay_alu instid0(VALU_DEP_2)
	v_wmma_f32_16x16x16_fp8_fp8 v[16:23], v[14:15], v[50:51], v[16:23]
	scratch_load_b128 v[48:51], off, s33 offset:864
	v_wmma_f32_16x16x16_fp8_fp8 v[24:31], v[14:15], v[68:69], v[24:31]
	scratch_load_b128 v[66:69], off, s33 offset:816
	s_wait_loadcnt 0xc
	v_wmma_f32_16x16x16_fp8_fp8 v[16:23], v[8:9], v[96:97], v[16:23]
	s_wait_loadcnt 0xb
	v_wmma_f32_16x16x16_fp8_fp8 v[24:31], v[8:9], v[112:113], v[24:31]
	s_delay_alu instid0(VALU_DEP_2)
	v_wmma_f32_16x16x16_fp8_fp8 v[16:23], v[10:11], v[98:99], v[16:23]
	scratch_load_b128 v[96:99], off, s33 offset:880
	v_wmma_f32_16x16x16_fp8_fp8 v[24:31], v[10:11], v[114:115], v[24:31]
	s_wait_loadcnt_dscnt 0x902
	v_wmma_f32_16x16x16_fp8_fp8 v[32:39], v[12:13], v[116:117], v[32:39]
	scratch_load_b128 v[112:115], off, s33 offset:928
	s_wait_loadcnt_dscnt 0x700
	v_wmma_f32_16x16x16_fp8_fp8 v[80:87], v[12:13], v[128:129], v[80:87]
	; sched_group_barrier mask(0x00000008) size(8) SyncID(0)
	; sched_group_barrier mask(0x00000100) size(1) SyncID(0)
	v_wmma_f32_16x16x16_fp8_fp8 v[32:39], v[14:15], v[118:119], v[32:39]
	scratch_load_b128 v[116:119], off, s33 offset:992
	v_wmma_f32_16x16x16_fp8_fp8 v[80:87], v[14:15], v[130:131], v[80:87]
	s_clause 0x1
	scratch_load_b128 v[12:15], off, s33 offset:944
	scratch_load_b128 v[128:131], off, s33 offset:1008
	s_wait_loadcnt 0x9
	v_wmma_f32_16x16x16_fp8_fp8 v[32:39], v[8:9], v[132:133], v[32:39]
	s_wait_loadcnt 0x8
	v_wmma_f32_16x16x16_fp8_fp8 v[80:87], v[8:9], v[144:145], v[80:87]
	s_delay_alu instid0(VALU_DEP_2) | instskip(NEXT) | instid1(VALU_DEP_2)
	v_wmma_f32_16x16x16_fp8_fp8 v[32:39], v[10:11], v[134:135], v[32:39]
	v_wmma_f32_16x16x16_fp8_fp8 v[80:87], v[10:11], v[146:147], v[80:87]
	s_wait_loadcnt 0x7
	v_wmma_f32_16x16x16_fp8_fp8 v[16:23], v[4:5], v[148:149], v[16:23]
	; sched_group_barrier mask(0x00000008) size(8) SyncID(0)
	; sched_group_barrier mask(0x00000100) size(1) SyncID(0)
	s_delay_alu instid0(VALU_DEP_1) | instskip(SKIP_3) | instid1(VALU_DEP_2)
	v_wmma_f32_16x16x16_fp8_fp8 v[16:23], v[6:7], v[150:151], v[16:23]
	s_wait_loadcnt 0x6
	v_wmma_f32_16x16x16_fp8_fp8 v[24:31], v[4:5], v[48:49], v[24:31]
	s_wait_loadcnt 0x5
	v_wmma_f32_16x16x16_fp8_fp8 v[16:23], v[0:1], v[66:67], v[16:23]
	s_delay_alu instid0(VALU_DEP_2)
	v_wmma_f32_16x16x16_fp8_fp8 v[24:31], v[6:7], v[50:51], v[24:31]
	scratch_load_b128 v[48:51], off, s33 offset:256
	v_wmma_f32_16x16x16_fp8_fp8 v[16:23], v[2:3], v[68:69], v[16:23]
	s_wait_loadcnt 0x5
	v_wmma_f32_16x16x16_fp8_fp8 v[24:31], v[0:1], v[96:97], v[24:31]
	s_clause 0x1
	flat_store_b128 v[52:53], v[16:19] offset:768
	flat_store_b128 v[52:53], v[20:23] offset:784
	v_wmma_f32_16x16x16_fp8_fp8 v[24:31], v[2:3], v[98:99], v[24:31]
	s_wait_loadcnt 0x4
	v_wmma_f32_16x16x16_fp8_fp8 v[32:39], v[4:5], v[112:113], v[32:39]
	; sched_group_barrier mask(0x00000008) size(8) SyncID(0)
	; sched_group_barrier mask(0x00000100) size(1) SyncID(0)
	s_wait_loadcnt 0x3
	v_wmma_f32_16x16x16_fp8_fp8 v[80:87], v[4:5], v[116:117], v[80:87]
	flat_store_b128 v[52:53], v[24:27] offset:800
	v_wmma_f32_16x16x16_fp8_fp8 v[32:39], v[6:7], v[114:115], v[32:39]
	flat_store_b128 v[52:53], v[28:31] offset:816
	v_wmma_f32_16x16x16_fp8_fp8 v[80:87], v[6:7], v[118:119], v[80:87]
	s_wait_loadcnt 0x2
	v_wmma_f32_16x16x16_fp8_fp8 v[32:39], v[0:1], v[12:13], v[32:39]
	s_wait_loadcnt 0x1
	s_delay_alu instid0(VALU_DEP_2) | instskip(NEXT) | instid1(VALU_DEP_2)
	v_wmma_f32_16x16x16_fp8_fp8 v[80:87], v[0:1], v[128:129], v[80:87]
	v_wmma_f32_16x16x16_fp8_fp8 v[32:39], v[2:3], v[14:15], v[32:39]
	s_delay_alu instid0(VALU_DEP_2)
	v_wmma_f32_16x16x16_fp8_fp8 v[80:87], v[2:3], v[130:131], v[80:87]
	; sched_group_barrier mask(0x00000008) size(8) SyncID(0)
	; sched_group_barrier mask(0x00000100) size(1) SyncID(0)
	s_clause 0x3
	flat_store_b128 v[52:53], v[36:39] offset:848
	flat_store_b128 v[52:53], v[32:35] offset:832
	;; [unrolled: 1-line block ×4, first 2 shown]
	s_clause 0x3
	flat_load_b64 v[7:8], v[64:65] offset:1148
	flat_load_b64 v[9:10], v[64:65] offset:1164
	flat_load_b128 v[0:3], v[64:65] offset:1176
	flat_load_b96 v[4:6], v[64:65] offset:1132
	flat_load_b64 v[11:12], v[54:55] offset:16
	s_wait_loadcnt 0x5
	v_ashrrev_i32_e32 v18, 16, v48
	v_ashrrev_i32_e32 v19, 8, v48
	;; [unrolled: 1-line block ×27, first 2 shown]
	s_wait_loadcnt_dscnt 0x303
	v_sub_nc_u32_e32 v7, v7, v10
	s_wait_loadcnt_dscnt 0x202
	v_add_nc_u32_e32 v13, 16, v3
	v_add_nc_u32_e32 v0, v9, v0
	v_sub_nc_u32_e32 v10, v8, v9
	s_wait_loadcnt_dscnt 0x101
	v_sub_nc_u32_e32 v2, v4, v2
	v_add3_u32 v1, v7, v1, 0xe0
	v_add_nc_u32_e32 v7, 64, v3
	v_add_nc_u32_e32 v3, 0x50, v3
	v_ashrrev_i32_e32 v9, 31, v13
	v_sub_nc_u32_e32 v0, v8, v0
	v_ashrrev_i32_e32 v8, 31, v1
	v_ashrrev_i32_e32 v14, 31, v7
	;; [unrolled: 1-line block ×3, first 2 shown]
	v_lshrrev_b32_e32 v9, 28, v9
	v_sub_nc_u32_e32 v6, v1, v6
	v_lshrrev_b32_e32 v8, 29, v8
	v_lshrrev_b32_e32 v14, 28, v14
	;; [unrolled: 1-line block ×3, first 2 shown]
	v_add_nc_u32_e32 v9, v13, v9
	v_lshlrev_b32_e32 v6, 7, v6
	v_add_nc_u32_e32 v8, v1, v8
	v_add_nc_u32_e32 v14, v7, v14
	;; [unrolled: 1-line block ×3, first 2 shown]
	v_lshrrev_b32_e32 v16, 4, v9
	v_and_b32_e32 v9, -16, v9
	v_and_b32_e32 v8, -8, v8
	v_lshrrev_b32_e32 v17, 4, v14
	v_lshrrev_b32_e32 v66, 4, v15
	v_and_b32_e32 v14, -16, v14
	v_sub_nc_u32_e32 v9, v13, v9
	v_sub_nc_u32_e32 v1, v1, v8
	v_and_b32_e32 v8, -16, v15
	v_add_nc_u32_e32 v15, v16, v0
	v_add_nc_u32_e32 v16, v17, v0
	;; [unrolled: 1-line block ×3, first 2 shown]
	v_xor_b32_e32 v10, v1, v10
	v_add_nc_u32_e32 v2, v2, v6
	v_xor_b32_e32 v13, v15, v1
	v_xor_b32_e32 v15, v16, v1
	;; [unrolled: 1-line block ×3, first 2 shown]
	v_sub_nc_u32_e32 v1, v10, v5
	v_sub_nc_u32_e32 v7, v7, v14
	;; [unrolled: 1-line block ×5, first 2 shown]
	v_lshlrev_b32_e32 v1, 4, v1
	v_sub_nc_u32_e32 v3, v3, v8
	v_lshlrev_b32_e32 v5, 4, v10
	v_lshlrev_b32_e32 v8, 4, v13
	;; [unrolled: 1-line block ×3, first 2 shown]
	v_add3_u32 v1, v6, v4, v1
	v_ashrrev_i32_e32 v66, 12, v51
	v_add3_u32 v4, v9, v2, v5
	v_add3_u32 v5, v7, v2, v8
	;; [unrolled: 1-line block ×3, first 2 shown]
	v_ashrrev_i32_e32 v6, 31, v1
	s_wait_loadcnt_dscnt 0x0
	v_add_co_u32 v0, vcc_lo, v11, v1
	v_ashrrev_i32_e32 v7, 31, v4
	v_ashrrev_i32_e32 v8, 31, v5
	;; [unrolled: 1-line block ×3, first 2 shown]
	v_add_co_u32 v2, s0, v11, v4
	v_add_co_u32 v4, s1, v11, v5
	;; [unrolled: 1-line block ×3, first 2 shown]
	s_wait_alu 0xfffd
	v_add_co_ci_u32_e64 v1, null, v12, v6, vcc_lo
	s_wait_alu 0xf1ff
	v_add_co_ci_u32_e64 v3, null, v12, v7, s0
	v_add_co_ci_u32_e64 v5, null, v12, v8, s1
	;; [unrolled: 1-line block ×3, first 2 shown]
	s_clause 0x3
	flat_load_b128 v[12:15], v[0:1]
	flat_load_b128 v[8:11], v[2:3]
	;; [unrolled: 1-line block ×4, first 2 shown]
	;;#ASMSTART
	v_cvt_off_f32_i4 v48, v48
	;;#ASMEND
	;;#ASMSTART
	v_cvt_off_f32_i4 v68, v18
	;;#ASMEND
	;; [unrolled: 3-line block ×32, first 2 shown]
	scratch_load_b128 v[16:19], off, s33 offset:320
	v_dual_mov_b32 v20, v100 :: v_dual_mov_b32 v21, v100
	v_dual_mov_b32 v22, v100 :: v_dual_mov_b32 v23, v100
	;; [unrolled: 1-line block ×4, first 2 shown]
	s_delay_alu instid0(VALU_DEP_4)
	v_cvt_pk_fp8_f32 v20, v48, v68
	v_cvt_pk_fp8_f32 v21, v69, v70
	;; [unrolled: 1-line block ×8, first 2 shown]
	v_cvt_pk_fp8_f32 v20, v71, v80 op_sel:[0,0,1]
	v_cvt_pk_fp8_f32 v21, v81, v82 op_sel:[0,0,1]
	;; [unrolled: 1-line block ×8, first 2 shown]
	s_clause 0x1
	scratch_store_b128 off, v[20:23], s33 offset:768
	scratch_store_b128 off, v[24:27], s33 offset:784
	s_wait_loadcnt 0x0
	;;#ASMSTART
	v_cvt_off_f32_i4 v28, v16
	;;#ASMEND
	v_ashrrev_i32_e32 v20, 16, v16
	v_ashrrev_i32_e32 v21, 8, v16
	;; [unrolled: 1-line block ×28, first 2 shown]
	;;#ASMSTART
	v_cvt_off_f32_i4 v66, v20
	;;#ASMEND
	;;#ASMSTART
	v_cvt_off_f32_i4 v67, v21
	;;#ASMEND
	;; [unrolled: 3-line block ×31, first 2 shown]
	scratch_load_b128 v[16:19], off, s33 offset:384
	v_dual_mov_b32 v20, v100 :: v_dual_mov_b32 v21, v100
	v_dual_mov_b32 v22, v100 :: v_dual_mov_b32 v23, v100
	;; [unrolled: 1-line block ×4, first 2 shown]
	s_delay_alu instid0(VALU_DEP_4)
	v_cvt_pk_fp8_f32 v20, v28, v66
	v_cvt_pk_fp8_f32 v21, v67, v68
	;; [unrolled: 1-line block ×8, first 2 shown]
	v_cvt_pk_fp8_f32 v20, v69, v70 op_sel:[0,0,1]
	v_cvt_pk_fp8_f32 v21, v71, v80 op_sel:[0,0,1]
	v_cvt_pk_fp8_f32 v22, v30, v31 op_sel:[0,0,1]
	v_cvt_pk_fp8_f32 v23, v32, v33 op_sel:[0,0,1]
	v_cvt_pk_fp8_f32 v24, v37, v38 op_sel:[0,0,1]
	v_cvt_pk_fp8_f32 v25, v39, v48 op_sel:[0,0,1]
	v_cvt_pk_fp8_f32 v26, v54, v55 op_sel:[0,0,1]
	v_cvt_pk_fp8_f32 v27, v64, v65 op_sel:[0,0,1]
	s_clause 0x1
	scratch_store_b128 off, v[20:23], s33 offset:832
	scratch_store_b128 off, v[24:27], s33 offset:848
	s_wait_loadcnt 0x0
	;;#ASMSTART
	v_cvt_off_f32_i4 v28, v16
	;;#ASMEND
	v_ashrrev_i32_e32 v20, 16, v16
	v_ashrrev_i32_e32 v21, 8, v16
	;; [unrolled: 1-line block ×28, first 2 shown]
	;;#ASMSTART
	v_cvt_off_f32_i4 v66, v20
	;;#ASMEND
	;;#ASMSTART
	v_cvt_off_f32_i4 v67, v21
	;;#ASMEND
	;; [unrolled: 3-line block ×31, first 2 shown]
	scratch_load_b128 v[16:19], off, s33 offset:448
	v_dual_mov_b32 v20, v100 :: v_dual_mov_b32 v21, v100
	v_dual_mov_b32 v22, v100 :: v_dual_mov_b32 v23, v100
	;; [unrolled: 1-line block ×4, first 2 shown]
	s_delay_alu instid0(VALU_DEP_4)
	v_cvt_pk_fp8_f32 v20, v28, v66
	v_cvt_pk_fp8_f32 v21, v67, v68
	;; [unrolled: 1-line block ×8, first 2 shown]
	v_cvt_pk_fp8_f32 v20, v69, v70 op_sel:[0,0,1]
	v_cvt_pk_fp8_f32 v21, v71, v80 op_sel:[0,0,1]
	;; [unrolled: 1-line block ×8, first 2 shown]
	s_clause 0x1
	scratch_store_b128 off, v[20:23], s33 offset:896
	scratch_store_b128 off, v[24:27], s33 offset:912
	s_wait_loadcnt 0x0
	;;#ASMSTART
	v_cvt_off_f32_i4 v28, v16
	;;#ASMEND
	v_ashrrev_i32_e32 v20, 16, v16
	v_ashrrev_i32_e32 v21, 8, v16
	;; [unrolled: 1-line block ×28, first 2 shown]
	;;#ASMSTART
	v_cvt_off_f32_i4 v66, v20
	;;#ASMEND
	;;#ASMSTART
	v_cvt_off_f32_i4 v67, v21
	;;#ASMEND
	;; [unrolled: 3-line block ×31, first 2 shown]
	scratch_load_b128 v[16:19], off, s33 offset:480
	v_dual_mov_b32 v20, v100 :: v_dual_mov_b32 v21, v100
	v_dual_mov_b32 v22, v100 :: v_dual_mov_b32 v23, v100
	;; [unrolled: 1-line block ×4, first 2 shown]
	s_delay_alu instid0(VALU_DEP_4)
	v_cvt_pk_fp8_f32 v20, v28, v66
	v_cvt_pk_fp8_f32 v21, v67, v68
	;; [unrolled: 1-line block ×8, first 2 shown]
	v_cvt_pk_fp8_f32 v20, v69, v70 op_sel:[0,0,1]
	v_cvt_pk_fp8_f32 v21, v71, v80 op_sel:[0,0,1]
	;; [unrolled: 1-line block ×8, first 2 shown]
	s_clause 0x1
	scratch_store_b128 off, v[20:23], s33 offset:960
	scratch_store_b128 off, v[24:27], s33 offset:976
	s_wait_loadcnt 0x0
	;;#ASMSTART
	v_cvt_off_f32_i4 v28, v16
	;;#ASMEND
	v_ashrrev_i32_e32 v20, 16, v16
	v_ashrrev_i32_e32 v21, 8, v16
	;; [unrolled: 1-line block ×28, first 2 shown]
	;;#ASMSTART
	v_cvt_off_f32_i4 v66, v20
	;;#ASMEND
	;;#ASMSTART
	v_cvt_off_f32_i4 v67, v21
	;;#ASMEND
	;; [unrolled: 3-line block ×31, first 2 shown]
	scratch_load_b128 v[16:19], off, s33 offset:416
	v_dual_mov_b32 v20, v100 :: v_dual_mov_b32 v21, v100
	v_dual_mov_b32 v22, v100 :: v_dual_mov_b32 v23, v100
	;; [unrolled: 1-line block ×4, first 2 shown]
	s_delay_alu instid0(VALU_DEP_4)
	v_cvt_pk_fp8_f32 v20, v28, v66
	v_cvt_pk_fp8_f32 v21, v67, v68
	v_cvt_pk_fp8_f32 v22, v81, v82
	v_cvt_pk_fp8_f32 v23, v83, v29
	v_cvt_pk_fp8_f32 v24, v84, v34
	v_cvt_pk_fp8_f32 v25, v35, v36
	v_cvt_pk_fp8_f32 v26, v85, v49
	v_cvt_pk_fp8_f32 v27, v50, v51
	v_cvt_pk_fp8_f32 v20, v69, v70 op_sel:[0,0,1]
	v_cvt_pk_fp8_f32 v21, v71, v80 op_sel:[0,0,1]
	v_cvt_pk_fp8_f32 v22, v30, v31 op_sel:[0,0,1]
	v_cvt_pk_fp8_f32 v23, v32, v33 op_sel:[0,0,1]
	v_cvt_pk_fp8_f32 v24, v37, v38 op_sel:[0,0,1]
	v_cvt_pk_fp8_f32 v25, v39, v48 op_sel:[0,0,1]
	v_cvt_pk_fp8_f32 v26, v54, v55 op_sel:[0,0,1]
	v_cvt_pk_fp8_f32 v27, v64, v65 op_sel:[0,0,1]
	s_clause 0x1
	scratch_store_b128 off, v[20:23], s33 offset:992
	scratch_store_b128 off, v[24:27], s33 offset:1008
	s_wait_loadcnt 0x0
	;;#ASMSTART
	v_cvt_off_f32_i4 v28, v16
	;;#ASMEND
	v_ashrrev_i32_e32 v20, 16, v16
	v_ashrrev_i32_e32 v21, 8, v16
	;; [unrolled: 1-line block ×28, first 2 shown]
	;;#ASMSTART
	v_cvt_off_f32_i4 v66, v20
	;;#ASMEND
	;;#ASMSTART
	v_cvt_off_f32_i4 v67, v21
	;;#ASMEND
	;; [unrolled: 3-line block ×31, first 2 shown]
	scratch_load_b128 v[16:19], off, s33 offset:352
	v_dual_mov_b32 v20, v100 :: v_dual_mov_b32 v21, v100
	v_dual_mov_b32 v22, v100 :: v_dual_mov_b32 v23, v100
	v_dual_mov_b32 v24, v100 :: v_dual_mov_b32 v25, v100
	v_dual_mov_b32 v26, v100 :: v_dual_mov_b32 v27, v100
	s_delay_alu instid0(VALU_DEP_4)
	v_cvt_pk_fp8_f32 v20, v28, v66
	v_cvt_pk_fp8_f32 v21, v67, v68
	v_cvt_pk_fp8_f32 v22, v81, v82
	v_cvt_pk_fp8_f32 v23, v83, v29
	v_cvt_pk_fp8_f32 v24, v84, v34
	v_cvt_pk_fp8_f32 v25, v35, v36
	v_cvt_pk_fp8_f32 v26, v85, v49
	v_cvt_pk_fp8_f32 v27, v50, v51
	v_cvt_pk_fp8_f32 v20, v69, v70 op_sel:[0,0,1]
	v_cvt_pk_fp8_f32 v21, v71, v80 op_sel:[0,0,1]
	;; [unrolled: 1-line block ×8, first 2 shown]
	s_clause 0x1
	scratch_store_b128 off, v[20:23], s33 offset:928
	scratch_store_b128 off, v[24:27], s33 offset:944
	s_wait_loadcnt 0x0
	;;#ASMSTART
	v_cvt_off_f32_i4 v32, v16
	;;#ASMEND
	v_ashrrev_i32_e32 v20, 16, v16
	v_ashrrev_i32_e32 v21, 8, v16
	;; [unrolled: 1-line block ×28, first 2 shown]
	;;#ASMSTART
	v_cvt_off_f32_i4 v66, v20
	;;#ASMEND
	;;#ASMSTART
	v_cvt_off_f32_i4 v67, v21
	;;#ASMEND
	;; [unrolled: 3-line block ×31, first 2 shown]
	scratch_load_b128 v[16:19], off, s33 offset:288
	v_dual_mov_b32 v20, v100 :: v_dual_mov_b32 v21, v100
	v_dual_mov_b32 v22, v100 :: v_dual_mov_b32 v23, v100
	;; [unrolled: 1-line block ×4, first 2 shown]
	s_delay_alu instid0(VALU_DEP_4)
	v_cvt_pk_fp8_f32 v20, v32, v66
	v_cvt_pk_fp8_f32 v21, v67, v68
	;; [unrolled: 1-line block ×8, first 2 shown]
	v_cvt_pk_fp8_f32 v20, v69, v70 op_sel:[0,0,1]
	v_cvt_pk_fp8_f32 v21, v71, v80 op_sel:[0,0,1]
	;; [unrolled: 1-line block ×8, first 2 shown]
	scratch_store_b128 off, v[20:23], s33 offset:864
	v_dual_mov_b32 v28, v100 :: v_dual_mov_b32 v29, v100
	v_mov_b32_e32 v30, v100
	scratch_store_b128 off, v[24:27], s33 offset:880
	s_wait_loadcnt 0x0
	;;#ASMSTART
	v_cvt_off_f32_i4 v20, v16
	;;#ASMEND
	v_dual_mov_b32 v31, v100 :: v_dual_mov_b32 v32, v100
	v_dual_mov_b32 v33, v100 :: v_dual_mov_b32 v34, v100
	v_ashrrev_i32_e32 v21, 16, v16
	v_ashrrev_i32_e32 v22, 8, v16
	;; [unrolled: 1-line block ×28, first 2 shown]
	;;#ASMSTART
	v_cvt_off_f32_i4 v21, v21
	;;#ASMEND
	;;#ASMSTART
	v_cvt_off_f32_i4 v22, v22
	;;#ASMEND
	;; [unrolled: 3-line block ×27, first 2 shown]
	v_cvt_pk_fp8_f32 v100, v67, v68
	;;#ASMSTART
	v_cvt_off_f32_i4 v69, v69
	;;#ASMEND
	;;#ASMSTART
	v_cvt_off_f32_i4 v70, v70
	;;#ASMEND
	;; [unrolled: 3-line block ×4, first 2 shown]
	v_cvt_pk_fp8_f32 v28, v20, v21
	v_cvt_pk_fp8_f32 v29, v22, v23
	;; [unrolled: 1-line block ×7, first 2 shown]
	v_cvt_pk_fp8_f32 v100, v71, v80 op_sel:[0,0,1]
	v_cvt_pk_fp8_f32 v28, v24, v25 op_sel:[0,0,1]
	v_cvt_pk_fp8_f32 v29, v26, v16 op_sel:[0,0,1]
	v_cvt_pk_fp8_f32 v30, v37, v38 op_sel:[0,0,1]
	v_cvt_pk_fp8_f32 v31, v39, v48 op_sel:[0,0,1]
	v_cvt_pk_fp8_f32 v32, v54, v55 op_sel:[0,0,1]
	v_cvt_pk_fp8_f32 v33, v64, v65 op_sel:[0,0,1]
	v_cvt_pk_fp8_f32 v34, v69, v70 op_sel:[0,0,1]
	v_mov_b32_e32 v35, v100
	s_clause 0x1
	scratch_store_b128 off, v[28:31], s33 offset:800
	scratch_store_b128 off, v[32:35], s33 offset:816
	; sched_barrier mask(0x00000000)
	scratch_load_b128 v[48:51], off, s33 offset:768
	s_clause 0x1
	flat_load_b128 v[20:23], v[52:53] offset:912
	flat_load_b128 v[16:19], v[52:53] offset:896
	scratch_load_b128 v[80:83], off, s33 offset:832
	s_clause 0x1
	flat_load_b128 v[28:31], v[52:53] offset:944
	flat_load_b128 v[24:27], v[52:53] offset:928
	;; [unrolled: 4-line block ×4, first 2 shown]
	s_clause 0x5
	scratch_load_b128 v[100:103], off, s33 offset:784
	scratch_load_b128 v[112:115], off, s33 offset:848
	;; [unrolled: 1-line block ×6, first 2 shown]
	v_readlane_b32 s30, v40, 0
	v_readlane_b32 s31, v40, 1
	s_mov_b32 s32, s33
	s_wait_loadcnt_dscnt 0xf06
	v_wmma_f32_16x16x16_fp8_fp8 v[16:23], v[12:13], v[48:49], v[16:23]
	s_wait_loadcnt_dscnt 0xc04
	v_wmma_f32_16x16x16_fp8_fp8 v[24:31], v[12:13], v[80:81], v[24:31]
	s_delay_alu instid0(VALU_DEP_2)
	v_wmma_f32_16x16x16_fp8_fp8 v[16:23], v[14:15], v[50:51], v[16:23]
	scratch_load_b128 v[48:51], off, s33 offset:928
	s_wait_loadcnt_dscnt 0xa02
	v_wmma_f32_16x16x16_fp8_fp8 v[32:39], v[12:13], v[84:85], v[32:39]
	v_wmma_f32_16x16x16_fp8_fp8 v[24:31], v[14:15], v[82:83], v[24:31]
	scratch_load_b128 v[80:83], off, s33 offset:992
	s_wait_loadcnt_dscnt 0x800
	v_wmma_f32_16x16x16_fp8_fp8 v[64:71], v[12:13], v[96:97], v[64:71]
	s_wait_loadcnt 0x7
	v_wmma_f32_16x16x16_fp8_fp8 v[16:23], v[8:9], v[100:101], v[16:23]
	v_wmma_f32_16x16x16_fp8_fp8 v[32:39], v[14:15], v[86:87], v[32:39]
	scratch_load_b128 v[84:87], off, s33 offset:816
	s_wait_loadcnt 0x7
	v_wmma_f32_16x16x16_fp8_fp8 v[24:31], v[8:9], v[112:113], v[24:31]
	v_wmma_f32_16x16x16_fp8_fp8 v[64:71], v[14:15], v[98:99], v[64:71]
	s_clause 0x1
	scratch_load_b128 v[12:15], off, s33 offset:880
	scratch_load_b128 v[96:99], off, s33 offset:944
	v_wmma_f32_16x16x16_fp8_fp8 v[16:23], v[10:11], v[102:103], v[16:23]
	scratch_load_b128 v[100:103], off, s33 offset:1008
	s_wait_loadcnt 0x9
	v_wmma_f32_16x16x16_fp8_fp8 v[32:39], v[8:9], v[116:117], v[32:39]
	s_wait_loadcnt 0x8
	v_wmma_f32_16x16x16_fp8_fp8 v[64:71], v[8:9], v[128:129], v[64:71]
	v_wmma_f32_16x16x16_fp8_fp8 v[24:31], v[10:11], v[114:115], v[24:31]
	s_wait_loadcnt 0x7
	v_wmma_f32_16x16x16_fp8_fp8 v[16:23], v[4:5], v[132:133], v[16:23]
	v_wmma_f32_16x16x16_fp8_fp8 v[32:39], v[10:11], v[118:119], v[32:39]
	;; [unrolled: 1-line block ×3, first 2 shown]
	s_wait_loadcnt 0x6
	v_wmma_f32_16x16x16_fp8_fp8 v[24:31], v[4:5], v[144:145], v[24:31]
	v_wmma_f32_16x16x16_fp8_fp8 v[16:23], v[6:7], v[134:135], v[16:23]
	s_delay_alu instid0(VALU_DEP_2) | instskip(SKIP_4) | instid1(VALU_DEP_2)
	v_wmma_f32_16x16x16_fp8_fp8 v[24:31], v[6:7], v[146:147], v[24:31]
	s_wait_loadcnt 0x5
	v_wmma_f32_16x16x16_fp8_fp8 v[32:39], v[4:5], v[48:49], v[32:39]
	s_wait_loadcnt 0x4
	v_wmma_f32_16x16x16_fp8_fp8 v[64:71], v[4:5], v[80:81], v[64:71]
	v_wmma_f32_16x16x16_fp8_fp8 v[32:39], v[6:7], v[50:51], v[32:39]
	s_wait_loadcnt 0x3
	v_wmma_f32_16x16x16_fp8_fp8 v[16:23], v[0:1], v[84:85], v[16:23]
	s_delay_alu instid0(VALU_DEP_3)
	v_wmma_f32_16x16x16_fp8_fp8 v[64:71], v[6:7], v[82:83], v[64:71]
	s_wait_loadcnt 0x2
	v_wmma_f32_16x16x16_fp8_fp8 v[24:31], v[0:1], v[12:13], v[24:31]
	s_wait_loadcnt 0x1
	v_wmma_f32_16x16x16_fp8_fp8 v[32:39], v[0:1], v[96:97], v[32:39]
	v_wmma_f32_16x16x16_fp8_fp8 v[16:23], v[2:3], v[86:87], v[16:23]
	s_wait_loadcnt 0x0
	v_wmma_f32_16x16x16_fp8_fp8 v[64:71], v[0:1], v[100:101], v[64:71]
	v_wmma_f32_16x16x16_fp8_fp8 v[24:31], v[2:3], v[14:15], v[24:31]
	;; [unrolled: 1-line block ×3, first 2 shown]
	flat_store_b128 v[52:53], v[16:19] offset:896
	v_wmma_f32_16x16x16_fp8_fp8 v[64:71], v[2:3], v[102:103], v[64:71]
	s_clause 0x6
	flat_store_b128 v[52:53], v[20:23] offset:912
	flat_store_b128 v[52:53], v[24:27] offset:928
	;; [unrolled: 1-line block ×7, first 2 shown]
	s_or_saveexec_b32 s0, -1
	scratch_load_b32 v40, off, s33 offset:1024 ; 4-byte Folded Reload
	s_wait_alu 0xfffe
	s_mov_b32 exec_lo, s0
	s_mov_b32 s33, s16
	s_wait_loadcnt_dscnt 0x0
	s_wait_alu 0xfffe
	s_setpc_b64 s[30:31]
.Lfunc_end8:
	.size	_ZNK2ck52BlockwiseGemmXdlops_pipeline_bpreshuffle_bdequant_v3ILNS_26BlockGemmPipelineSchedulerE0ELi256ENS_9f8_fnuz_tENS_7pk_i4_tES2_fNS_16TensorDescriptorINS_5TupleIJNS_5EmbedINS5_IJNS_17integral_constantIiLi8EEENS7_IiLi256EEENS7_IiLi16EEEEEENS5_IJSA_NS7_IiLi128EEENS7_IiLi1EEEEEELb0EEENS_3XorINS5_IJS9_S8_EEELb1EEENS_11PassThroughISA_EENS_7UnMergeINS5_IJS8_SD_EEELb0EEENSJ_IS9_EESK_NSJ_IS8_EENS_21Merge_v3_division_modINS5_IJS9_SD_EEEEESK_EEENS5_IJNS_8SequenceIJLi0EEEENSU_IJLi2ELi1EEEENSU_IJLi3EEEENSU_IJLi5EEEENSU_IJLi4EEEENSU_IJLi6EEEENSU_IJLi7EEEENSU_IJLi9ELi8EEEENSU_IJLi10EEEEEEENS5_IJNSU_IJLi1ELi2ELi3EEEENSU_IJLi4ELi5EEEES10_NSU_IJLi7ELi8EEEENSU_IJLi9EEEES13_NSU_IJLi11EEEENSU_IJLi12EEEENSU_IJLi13EEEEEEENSU_IJLi11ELi12ELi13EEEENS7_IlLl32768EEEEENS4_INS5_IJNSL_INS5_IJNS7_IiLi4EEESD_NS7_IiLi2EEENS7_IiLi32EEEEEELb0EEEEEENS5_IJSV_EEENS5_IJNSU_IJLi1ELi2ELi3ELi4EEEEEEES1N_NS7_IlLl256EEEEENS4_INS5_IJSF_SI_SK_SN_SO_SK_SP_SS_SK_NSQ_INS5_IJS8_SA_EEEEENSL_INS5_IJS8_S1H_SA_EEELb0EEEEEENS5_IJSV_SW_SX_SY_SZ_S10_S11_S12_S13_NSU_IJLi11ELi13EEEES1A_EEENS5_IJS15_S16_S10_S17_S18_S13_S19_S1A_S1B_NSU_IJLi14EEEENSU_IJLi15ELi16ELi17EEEEEEENSU_IJLi15ELi16ELi17ELi14EEEES1E_EENS4_INS5_IJS1K_NSQ_INS5_IJS1G_S1H_EEEEENSL_INS5_IJS1G_S1G_SA_EEELb0EEEEEENS5_IJSV_NSU_IJLi1ELi3EEEENSU_IJLi2EEEEEEENS5_IJS1N_SY_NSU_IJLi6ELi7ELi8EEEEEEENSU_IJLi6ELi7ELi8ELi5EEEES1P_EELi16ELi32ELi256ELi256ELi128ELi16ELi16ELi8ELi4ELi32ELb0EE3RunILb1ELNS_10TailNumberE1ENS4_INS5_IJNS6_INS5_IJiiEEENS5_IJiSD_EEELb0EEENSL_IS2I_Lb0EEENSJ_IiEEEEENS5_IJSV_S29_NSU_IJLi1EEEEEEENS5_IJNSU_IJLi1ELi2EEEENSU_IJLi3ELi4EEEESY_EEENSU_IJLi3ELi5ELi4EEEElEES1F_NS_35ThreadGroupTensorSliceTransfer_v4r1INS_15ThisThreadBlockILi256EEENS_16tensor_operation12element_wise11PassThroughES30_LNS_25InMemoryDataOperationEnumE0ENSU_IJLi8ELi256ELi16EEEENSU_IJLi8ELi32ELi1EEEENSU_IJLi1ELi0ELi2EEEES2_S2_RKS2U_KS1F_S34_NSU_IJLi0ELi1ELi2EEEELi2ELi2ELi16ELi16ELi1ELi1ELb0ELb1ELi2EiEENS_13DynamicBufferILNS_16AddressSpaceEnumE1EKS2_lLb1ELNS_22AmdBufferCoherenceEnumE0EiEENS5_IJNS3A_ILS3B_2ES2_S1E_Lb1ELS3D_0EiEES3F_EEENS5_IJiiiEEENS4_INS5_IJNS6_INS5_IJiiiiEEENS5_IJiiiSD_EEELb0EEEEEES1M_S1O_S1N_lEENS_32ThreadwiseTensorSliceTransfer_v2IS3_S3_RKS3M_KS1Q_NSU_IJLi4ELi1ELi2ELi32EEEENSU_IJLi1ELi2ELi0ELi3EEEELi3ELi32ELi0ELb1ELb0ELb0EEENS3A_ILS3B_1EKS3_lLb1ELS3D_0EiEENS5_IJNS_12StaticBufferILS3B_4ES3_Li256ELb1EEES3X_EEES3I_NS_25StaticBufferTupleOfVectorILS3B_4EfLi32ELi8ELb1ELb0EEEEEvRKT1_RKT2_RT3_RKT4_RT5_RKT6_RKT7_RT8_RKT9_RT10_RKT11_RT12_i, .Lfunc_end8-_ZNK2ck52BlockwiseGemmXdlops_pipeline_bpreshuffle_bdequant_v3ILNS_26BlockGemmPipelineSchedulerE0ELi256ENS_9f8_fnuz_tENS_7pk_i4_tES2_fNS_16TensorDescriptorINS_5TupleIJNS_5EmbedINS5_IJNS_17integral_constantIiLi8EEENS7_IiLi256EEENS7_IiLi16EEEEEENS5_IJSA_NS7_IiLi128EEENS7_IiLi1EEEEEELb0EEENS_3XorINS5_IJS9_S8_EEELb1EEENS_11PassThroughISA_EENS_7UnMergeINS5_IJS8_SD_EEELb0EEENSJ_IS9_EESK_NSJ_IS8_EENS_21Merge_v3_division_modINS5_IJS9_SD_EEEEESK_EEENS5_IJNS_8SequenceIJLi0EEEENSU_IJLi2ELi1EEEENSU_IJLi3EEEENSU_IJLi5EEEENSU_IJLi4EEEENSU_IJLi6EEEENSU_IJLi7EEEENSU_IJLi9ELi8EEEENSU_IJLi10EEEEEEENS5_IJNSU_IJLi1ELi2ELi3EEEENSU_IJLi4ELi5EEEES10_NSU_IJLi7ELi8EEEENSU_IJLi9EEEES13_NSU_IJLi11EEEENSU_IJLi12EEEENSU_IJLi13EEEEEEENSU_IJLi11ELi12ELi13EEEENS7_IlLl32768EEEEENS4_INS5_IJNSL_INS5_IJNS7_IiLi4EEESD_NS7_IiLi2EEENS7_IiLi32EEEEEELb0EEEEEENS5_IJSV_EEENS5_IJNSU_IJLi1ELi2ELi3ELi4EEEEEEES1N_NS7_IlLl256EEEEENS4_INS5_IJSF_SI_SK_SN_SO_SK_SP_SS_SK_NSQ_INS5_IJS8_SA_EEEEENSL_INS5_IJS8_S1H_SA_EEELb0EEEEEENS5_IJSV_SW_SX_SY_SZ_S10_S11_S12_S13_NSU_IJLi11ELi13EEEES1A_EEENS5_IJS15_S16_S10_S17_S18_S13_S19_S1A_S1B_NSU_IJLi14EEEENSU_IJLi15ELi16ELi17EEEEEEENSU_IJLi15ELi16ELi17ELi14EEEES1E_EENS4_INS5_IJS1K_NSQ_INS5_IJS1G_S1H_EEEEENSL_INS5_IJS1G_S1G_SA_EEELb0EEEEEENS5_IJSV_NSU_IJLi1ELi3EEEENSU_IJLi2EEEEEEENS5_IJS1N_SY_NSU_IJLi6ELi7ELi8EEEEEEENSU_IJLi6ELi7ELi8ELi5EEEES1P_EELi16ELi32ELi256ELi256ELi128ELi16ELi16ELi8ELi4ELi32ELb0EE3RunILb1ELNS_10TailNumberE1ENS4_INS5_IJNS6_INS5_IJiiEEENS5_IJiSD_EEELb0EEENSL_IS2I_Lb0EEENSJ_IiEEEEENS5_IJSV_S29_NSU_IJLi1EEEEEEENS5_IJNSU_IJLi1ELi2EEEENSU_IJLi3ELi4EEEESY_EEENSU_IJLi3ELi5ELi4EEEElEES1F_NS_35ThreadGroupTensorSliceTransfer_v4r1INS_15ThisThreadBlockILi256EEENS_16tensor_operation12element_wise11PassThroughES30_LNS_25InMemoryDataOperationEnumE0ENSU_IJLi8ELi256ELi16EEEENSU_IJLi8ELi32ELi1EEEENSU_IJLi1ELi0ELi2EEEES2_S2_RKS2U_KS1F_S34_NSU_IJLi0ELi1ELi2EEEELi2ELi2ELi16ELi16ELi1ELi1ELb0ELb1ELi2EiEENS_13DynamicBufferILNS_16AddressSpaceEnumE1EKS2_lLb1ELNS_22AmdBufferCoherenceEnumE0EiEENS5_IJNS3A_ILS3B_2ES2_S1E_Lb1ELS3D_0EiEES3F_EEENS5_IJiiiEEENS4_INS5_IJNS6_INS5_IJiiiiEEENS5_IJiiiSD_EEELb0EEEEEES1M_S1O_S1N_lEENS_32ThreadwiseTensorSliceTransfer_v2IS3_S3_RKS3M_KS1Q_NSU_IJLi4ELi1ELi2ELi32EEEENSU_IJLi1ELi2ELi0ELi3EEEELi3ELi32ELi0ELb1ELb0ELb0EEENS3A_ILS3B_1EKS3_lLb1ELS3D_0EiEENS5_IJNS_12StaticBufferILS3B_4ES3_Li256ELb1EEES3X_EEES3I_NS_25StaticBufferTupleOfVectorILS3B_4EfLi32ELi8ELb1ELb0EEEEEvRKT1_RKT2_RT3_RKT4_RT5_RKT6_RKT7_RT8_RKT9_RT10_RKT11_RT12_i
                                        ; -- End function
	.set .L_ZNK2ck52BlockwiseGemmXdlops_pipeline_bpreshuffle_bdequant_v3ILNS_26BlockGemmPipelineSchedulerE0ELi256ENS_9f8_fnuz_tENS_7pk_i4_tES2_fNS_16TensorDescriptorINS_5TupleIJNS_5EmbedINS5_IJNS_17integral_constantIiLi8EEENS7_IiLi256EEENS7_IiLi16EEEEEENS5_IJSA_NS7_IiLi128EEENS7_IiLi1EEEEEELb0EEENS_3XorINS5_IJS9_S8_EEELb1EEENS_11PassThroughISA_EENS_7UnMergeINS5_IJS8_SD_EEELb0EEENSJ_IS9_EESK_NSJ_IS8_EENS_21Merge_v3_division_modINS5_IJS9_SD_EEEEESK_EEENS5_IJNS_8SequenceIJLi0EEEENSU_IJLi2ELi1EEEENSU_IJLi3EEEENSU_IJLi5EEEENSU_IJLi4EEEENSU_IJLi6EEEENSU_IJLi7EEEENSU_IJLi9ELi8EEEENSU_IJLi10EEEEEEENS5_IJNSU_IJLi1ELi2ELi3EEEENSU_IJLi4ELi5EEEES10_NSU_IJLi7ELi8EEEENSU_IJLi9EEEES13_NSU_IJLi11EEEENSU_IJLi12EEEENSU_IJLi13EEEEEEENSU_IJLi11ELi12ELi13EEEENS7_IlLl32768EEEEENS4_INS5_IJNSL_INS5_IJNS7_IiLi4EEESD_NS7_IiLi2EEENS7_IiLi32EEEEEELb0EEEEEENS5_IJSV_EEENS5_IJNSU_IJLi1ELi2ELi3ELi4EEEEEEES1N_NS7_IlLl256EEEEENS4_INS5_IJSF_SI_SK_SN_SO_SK_SP_SS_SK_NSQ_INS5_IJS8_SA_EEEEENSL_INS5_IJS8_S1H_SA_EEELb0EEEEEENS5_IJSV_SW_SX_SY_SZ_S10_S11_S12_S13_NSU_IJLi11ELi13EEEES1A_EEENS5_IJS15_S16_S10_S17_S18_S13_S19_S1A_S1B_NSU_IJLi14EEEENSU_IJLi15ELi16ELi17EEEEEEENSU_IJLi15ELi16ELi17ELi14EEEES1E_EENS4_INS5_IJS1K_NSQ_INS5_IJS1G_S1H_EEEEENSL_INS5_IJS1G_S1G_SA_EEELb0EEEEEENS5_IJSV_NSU_IJLi1ELi3EEEENSU_IJLi2EEEEEEENS5_IJS1N_SY_NSU_IJLi6ELi7ELi8EEEEEEENSU_IJLi6ELi7ELi8ELi5EEEES1P_EELi16ELi32ELi256ELi256ELi128ELi16ELi16ELi8ELi4ELi32ELb0EE3RunILb1ELNS_10TailNumberE1ENS4_INS5_IJNS6_INS5_IJiiEEENS5_IJiSD_EEELb0EEENSL_IS2I_Lb0EEENSJ_IiEEEEENS5_IJSV_S29_NSU_IJLi1EEEEEEENS5_IJNSU_IJLi1ELi2EEEENSU_IJLi3ELi4EEEESY_EEENSU_IJLi3ELi5ELi4EEEElEES1F_NS_35ThreadGroupTensorSliceTransfer_v4r1INS_15ThisThreadBlockILi256EEENS_16tensor_operation12element_wise11PassThroughES30_LNS_25InMemoryDataOperationEnumE0ENSU_IJLi8ELi256ELi16EEEENSU_IJLi8ELi32ELi1EEEENSU_IJLi1ELi0ELi2EEEES2_S2_RKS2U_KS1F_S34_NSU_IJLi0ELi1ELi2EEEELi2ELi2ELi16ELi16ELi1ELi1ELb0ELb1ELi2EiEENS_13DynamicBufferILNS_16AddressSpaceEnumE1EKS2_lLb1ELNS_22AmdBufferCoherenceEnumE0EiEENS5_IJNS3A_ILS3B_2ES2_S1E_Lb1ELS3D_0EiEES3F_EEENS5_IJiiiEEENS4_INS5_IJNS6_INS5_IJiiiiEEENS5_IJiiiSD_EEELb0EEEEEES1M_S1O_S1N_lEENS_32ThreadwiseTensorSliceTransfer_v2IS3_S3_RKS3M_KS1Q_NSU_IJLi4ELi1ELi2ELi32EEEENSU_IJLi1ELi2ELi0ELi3EEEELi3ELi32ELi0ELb1ELb0ELb0EEENS3A_ILS3B_1EKS3_lLb1ELS3D_0EiEENS5_IJNS_12StaticBufferILS3B_4ES3_Li256ELb1EEES3X_EEES3I_NS_25StaticBufferTupleOfVectorILS3B_4EfLi32ELi8ELb1ELb0EEEEEvRKT1_RKT2_RT3_RKT4_RT5_RKT6_RKT7_RT8_RKT9_RT10_RKT11_RT12_i.num_vgpr, max(152, .L_ZNK2ck44ThreadwiseTensorSliceTransfer_StaticToStaticINS_7pk_i4_tENS_9f8_fnuz_tEKNS_16TensorDescriptorINS_5TupleIJNS_7UnMergeINS4_IJNS_17integral_constantIiLi4EEENS6_IiLi1EEENS6_IiLi2EEENS6_IiLi32EEEEEELb0EEEEEENS4_IJNS_8SequenceIJLi0EEEEEEENS4_IJNSE_IJLi1ELi2ELi3ELi4EEEEEEESH_NS6_IlLl256EEEEESL_NS_16tensor_operation12element_wise11PassThroughENSE_IJLi4ELi1ELi2ELi32EEEENSE_IJLi1ELi2ELi0ELi3EEEELi3ELi32ELb0EE3RunINS4_IJNS6_IiLi0EEEST_ST_ST_EEESU_NS_12StaticBufferILNS_16AddressSpaceEnumE4ES1_Li256ELb1EEENSV_ILSW_4ES2_Li256ELb1EEEEEvRSL_RKT_RKT1_SZ_RKT0_RT2_.num_vgpr)
	.set .L_ZNK2ck52BlockwiseGemmXdlops_pipeline_bpreshuffle_bdequant_v3ILNS_26BlockGemmPipelineSchedulerE0ELi256ENS_9f8_fnuz_tENS_7pk_i4_tES2_fNS_16TensorDescriptorINS_5TupleIJNS_5EmbedINS5_IJNS_17integral_constantIiLi8EEENS7_IiLi256EEENS7_IiLi16EEEEEENS5_IJSA_NS7_IiLi128EEENS7_IiLi1EEEEEELb0EEENS_3XorINS5_IJS9_S8_EEELb1EEENS_11PassThroughISA_EENS_7UnMergeINS5_IJS8_SD_EEELb0EEENSJ_IS9_EESK_NSJ_IS8_EENS_21Merge_v3_division_modINS5_IJS9_SD_EEEEESK_EEENS5_IJNS_8SequenceIJLi0EEEENSU_IJLi2ELi1EEEENSU_IJLi3EEEENSU_IJLi5EEEENSU_IJLi4EEEENSU_IJLi6EEEENSU_IJLi7EEEENSU_IJLi9ELi8EEEENSU_IJLi10EEEEEEENS5_IJNSU_IJLi1ELi2ELi3EEEENSU_IJLi4ELi5EEEES10_NSU_IJLi7ELi8EEEENSU_IJLi9EEEES13_NSU_IJLi11EEEENSU_IJLi12EEEENSU_IJLi13EEEEEEENSU_IJLi11ELi12ELi13EEEENS7_IlLl32768EEEEENS4_INS5_IJNSL_INS5_IJNS7_IiLi4EEESD_NS7_IiLi2EEENS7_IiLi32EEEEEELb0EEEEEENS5_IJSV_EEENS5_IJNSU_IJLi1ELi2ELi3ELi4EEEEEEES1N_NS7_IlLl256EEEEENS4_INS5_IJSF_SI_SK_SN_SO_SK_SP_SS_SK_NSQ_INS5_IJS8_SA_EEEEENSL_INS5_IJS8_S1H_SA_EEELb0EEEEEENS5_IJSV_SW_SX_SY_SZ_S10_S11_S12_S13_NSU_IJLi11ELi13EEEES1A_EEENS5_IJS15_S16_S10_S17_S18_S13_S19_S1A_S1B_NSU_IJLi14EEEENSU_IJLi15ELi16ELi17EEEEEEENSU_IJLi15ELi16ELi17ELi14EEEES1E_EENS4_INS5_IJS1K_NSQ_INS5_IJS1G_S1H_EEEEENSL_INS5_IJS1G_S1G_SA_EEELb0EEEEEENS5_IJSV_NSU_IJLi1ELi3EEEENSU_IJLi2EEEEEEENS5_IJS1N_SY_NSU_IJLi6ELi7ELi8EEEEEEENSU_IJLi6ELi7ELi8ELi5EEEES1P_EELi16ELi32ELi256ELi256ELi128ELi16ELi16ELi8ELi4ELi32ELb0EE3RunILb1ELNS_10TailNumberE1ENS4_INS5_IJNS6_INS5_IJiiEEENS5_IJiSD_EEELb0EEENSL_IS2I_Lb0EEENSJ_IiEEEEENS5_IJSV_S29_NSU_IJLi1EEEEEEENS5_IJNSU_IJLi1ELi2EEEENSU_IJLi3ELi4EEEESY_EEENSU_IJLi3ELi5ELi4EEEElEES1F_NS_35ThreadGroupTensorSliceTransfer_v4r1INS_15ThisThreadBlockILi256EEENS_16tensor_operation12element_wise11PassThroughES30_LNS_25InMemoryDataOperationEnumE0ENSU_IJLi8ELi256ELi16EEEENSU_IJLi8ELi32ELi1EEEENSU_IJLi1ELi0ELi2EEEES2_S2_RKS2U_KS1F_S34_NSU_IJLi0ELi1ELi2EEEELi2ELi2ELi16ELi16ELi1ELi1ELb0ELb1ELi2EiEENS_13DynamicBufferILNS_16AddressSpaceEnumE1EKS2_lLb1ELNS_22AmdBufferCoherenceEnumE0EiEENS5_IJNS3A_ILS3B_2ES2_S1E_Lb1ELS3D_0EiEES3F_EEENS5_IJiiiEEENS4_INS5_IJNS6_INS5_IJiiiiEEENS5_IJiiiSD_EEELb0EEEEEES1M_S1O_S1N_lEENS_32ThreadwiseTensorSliceTransfer_v2IS3_S3_RKS3M_KS1Q_NSU_IJLi4ELi1ELi2ELi32EEEENSU_IJLi1ELi2ELi0ELi3EEEELi3ELi32ELi0ELb1ELb0ELb0EEENS3A_ILS3B_1EKS3_lLb1ELS3D_0EiEENS5_IJNS_12StaticBufferILS3B_4ES3_Li256ELb1EEES3X_EEES3I_NS_25StaticBufferTupleOfVectorILS3B_4EfLi32ELi8ELb1ELb0EEEEEvRKT1_RKT2_RT3_RKT4_RT5_RKT6_RKT7_RT8_RKT9_RT10_RKT11_RT12_i.num_agpr, max(0, .L_ZNK2ck44ThreadwiseTensorSliceTransfer_StaticToStaticINS_7pk_i4_tENS_9f8_fnuz_tEKNS_16TensorDescriptorINS_5TupleIJNS_7UnMergeINS4_IJNS_17integral_constantIiLi4EEENS6_IiLi1EEENS6_IiLi2EEENS6_IiLi32EEEEEELb0EEEEEENS4_IJNS_8SequenceIJLi0EEEEEEENS4_IJNSE_IJLi1ELi2ELi3ELi4EEEEEEESH_NS6_IlLl256EEEEESL_NS_16tensor_operation12element_wise11PassThroughENSE_IJLi4ELi1ELi2ELi32EEEENSE_IJLi1ELi2ELi0ELi3EEEELi3ELi32ELb0EE3RunINS4_IJNS6_IiLi0EEEST_ST_ST_EEESU_NS_12StaticBufferILNS_16AddressSpaceEnumE4ES1_Li256ELb1EEENSV_ILSW_4ES2_Li256ELb1EEEEEvRSL_RKT_RKT1_SZ_RKT0_RT2_.num_agpr)
	.set .L_ZNK2ck52BlockwiseGemmXdlops_pipeline_bpreshuffle_bdequant_v3ILNS_26BlockGemmPipelineSchedulerE0ELi256ENS_9f8_fnuz_tENS_7pk_i4_tES2_fNS_16TensorDescriptorINS_5TupleIJNS_5EmbedINS5_IJNS_17integral_constantIiLi8EEENS7_IiLi256EEENS7_IiLi16EEEEEENS5_IJSA_NS7_IiLi128EEENS7_IiLi1EEEEEELb0EEENS_3XorINS5_IJS9_S8_EEELb1EEENS_11PassThroughISA_EENS_7UnMergeINS5_IJS8_SD_EEELb0EEENSJ_IS9_EESK_NSJ_IS8_EENS_21Merge_v3_division_modINS5_IJS9_SD_EEEEESK_EEENS5_IJNS_8SequenceIJLi0EEEENSU_IJLi2ELi1EEEENSU_IJLi3EEEENSU_IJLi5EEEENSU_IJLi4EEEENSU_IJLi6EEEENSU_IJLi7EEEENSU_IJLi9ELi8EEEENSU_IJLi10EEEEEEENS5_IJNSU_IJLi1ELi2ELi3EEEENSU_IJLi4ELi5EEEES10_NSU_IJLi7ELi8EEEENSU_IJLi9EEEES13_NSU_IJLi11EEEENSU_IJLi12EEEENSU_IJLi13EEEEEEENSU_IJLi11ELi12ELi13EEEENS7_IlLl32768EEEEENS4_INS5_IJNSL_INS5_IJNS7_IiLi4EEESD_NS7_IiLi2EEENS7_IiLi32EEEEEELb0EEEEEENS5_IJSV_EEENS5_IJNSU_IJLi1ELi2ELi3ELi4EEEEEEES1N_NS7_IlLl256EEEEENS4_INS5_IJSF_SI_SK_SN_SO_SK_SP_SS_SK_NSQ_INS5_IJS8_SA_EEEEENSL_INS5_IJS8_S1H_SA_EEELb0EEEEEENS5_IJSV_SW_SX_SY_SZ_S10_S11_S12_S13_NSU_IJLi11ELi13EEEES1A_EEENS5_IJS15_S16_S10_S17_S18_S13_S19_S1A_S1B_NSU_IJLi14EEEENSU_IJLi15ELi16ELi17EEEEEEENSU_IJLi15ELi16ELi17ELi14EEEES1E_EENS4_INS5_IJS1K_NSQ_INS5_IJS1G_S1H_EEEEENSL_INS5_IJS1G_S1G_SA_EEELb0EEEEEENS5_IJSV_NSU_IJLi1ELi3EEEENSU_IJLi2EEEEEEENS5_IJS1N_SY_NSU_IJLi6ELi7ELi8EEEEEEENSU_IJLi6ELi7ELi8ELi5EEEES1P_EELi16ELi32ELi256ELi256ELi128ELi16ELi16ELi8ELi4ELi32ELb0EE3RunILb1ELNS_10TailNumberE1ENS4_INS5_IJNS6_INS5_IJiiEEENS5_IJiSD_EEELb0EEENSL_IS2I_Lb0EEENSJ_IiEEEEENS5_IJSV_S29_NSU_IJLi1EEEEEEENS5_IJNSU_IJLi1ELi2EEEENSU_IJLi3ELi4EEEESY_EEENSU_IJLi3ELi5ELi4EEEElEES1F_NS_35ThreadGroupTensorSliceTransfer_v4r1INS_15ThisThreadBlockILi256EEENS_16tensor_operation12element_wise11PassThroughES30_LNS_25InMemoryDataOperationEnumE0ENSU_IJLi8ELi256ELi16EEEENSU_IJLi8ELi32ELi1EEEENSU_IJLi1ELi0ELi2EEEES2_S2_RKS2U_KS1F_S34_NSU_IJLi0ELi1ELi2EEEELi2ELi2ELi16ELi16ELi1ELi1ELb0ELb1ELi2EiEENS_13DynamicBufferILNS_16AddressSpaceEnumE1EKS2_lLb1ELNS_22AmdBufferCoherenceEnumE0EiEENS5_IJNS3A_ILS3B_2ES2_S1E_Lb1ELS3D_0EiEES3F_EEENS5_IJiiiEEENS4_INS5_IJNS6_INS5_IJiiiiEEENS5_IJiiiSD_EEELb0EEEEEES1M_S1O_S1N_lEENS_32ThreadwiseTensorSliceTransfer_v2IS3_S3_RKS3M_KS1Q_NSU_IJLi4ELi1ELi2ELi32EEEENSU_IJLi1ELi2ELi0ELi3EEEELi3ELi32ELi0ELb1ELb0ELb0EEENS3A_ILS3B_1EKS3_lLb1ELS3D_0EiEENS5_IJNS_12StaticBufferILS3B_4ES3_Li256ELb1EEES3X_EEES3I_NS_25StaticBufferTupleOfVectorILS3B_4EfLi32ELi8ELb1ELb0EEEEEvRKT1_RKT2_RT3_RKT4_RT5_RKT6_RKT7_RT8_RKT9_RT10_RKT11_RT12_i.numbered_sgpr, max(34, .L_ZNK2ck44ThreadwiseTensorSliceTransfer_StaticToStaticINS_7pk_i4_tENS_9f8_fnuz_tEKNS_16TensorDescriptorINS_5TupleIJNS_7UnMergeINS4_IJNS_17integral_constantIiLi4EEENS6_IiLi1EEENS6_IiLi2EEENS6_IiLi32EEEEEELb0EEEEEENS4_IJNS_8SequenceIJLi0EEEEEEENS4_IJNSE_IJLi1ELi2ELi3ELi4EEEEEEESH_NS6_IlLl256EEEEESL_NS_16tensor_operation12element_wise11PassThroughENSE_IJLi4ELi1ELi2ELi32EEEENSE_IJLi1ELi2ELi0ELi3EEEELi3ELi32ELb0EE3RunINS4_IJNS6_IiLi0EEEST_ST_ST_EEESU_NS_12StaticBufferILNS_16AddressSpaceEnumE4ES1_Li256ELb1EEENSV_ILSW_4ES2_Li256ELb1EEEEEvRSL_RKT_RKT1_SZ_RKT0_RT2_.numbered_sgpr)
	.set .L_ZNK2ck52BlockwiseGemmXdlops_pipeline_bpreshuffle_bdequant_v3ILNS_26BlockGemmPipelineSchedulerE0ELi256ENS_9f8_fnuz_tENS_7pk_i4_tES2_fNS_16TensorDescriptorINS_5TupleIJNS_5EmbedINS5_IJNS_17integral_constantIiLi8EEENS7_IiLi256EEENS7_IiLi16EEEEEENS5_IJSA_NS7_IiLi128EEENS7_IiLi1EEEEEELb0EEENS_3XorINS5_IJS9_S8_EEELb1EEENS_11PassThroughISA_EENS_7UnMergeINS5_IJS8_SD_EEELb0EEENSJ_IS9_EESK_NSJ_IS8_EENS_21Merge_v3_division_modINS5_IJS9_SD_EEEEESK_EEENS5_IJNS_8SequenceIJLi0EEEENSU_IJLi2ELi1EEEENSU_IJLi3EEEENSU_IJLi5EEEENSU_IJLi4EEEENSU_IJLi6EEEENSU_IJLi7EEEENSU_IJLi9ELi8EEEENSU_IJLi10EEEEEEENS5_IJNSU_IJLi1ELi2ELi3EEEENSU_IJLi4ELi5EEEES10_NSU_IJLi7ELi8EEEENSU_IJLi9EEEES13_NSU_IJLi11EEEENSU_IJLi12EEEENSU_IJLi13EEEEEEENSU_IJLi11ELi12ELi13EEEENS7_IlLl32768EEEEENS4_INS5_IJNSL_INS5_IJNS7_IiLi4EEESD_NS7_IiLi2EEENS7_IiLi32EEEEEELb0EEEEEENS5_IJSV_EEENS5_IJNSU_IJLi1ELi2ELi3ELi4EEEEEEES1N_NS7_IlLl256EEEEENS4_INS5_IJSF_SI_SK_SN_SO_SK_SP_SS_SK_NSQ_INS5_IJS8_SA_EEEEENSL_INS5_IJS8_S1H_SA_EEELb0EEEEEENS5_IJSV_SW_SX_SY_SZ_S10_S11_S12_S13_NSU_IJLi11ELi13EEEES1A_EEENS5_IJS15_S16_S10_S17_S18_S13_S19_S1A_S1B_NSU_IJLi14EEEENSU_IJLi15ELi16ELi17EEEEEEENSU_IJLi15ELi16ELi17ELi14EEEES1E_EENS4_INS5_IJS1K_NSQ_INS5_IJS1G_S1H_EEEEENSL_INS5_IJS1G_S1G_SA_EEELb0EEEEEENS5_IJSV_NSU_IJLi1ELi3EEEENSU_IJLi2EEEEEEENS5_IJS1N_SY_NSU_IJLi6ELi7ELi8EEEEEEENSU_IJLi6ELi7ELi8ELi5EEEES1P_EELi16ELi32ELi256ELi256ELi128ELi16ELi16ELi8ELi4ELi32ELb0EE3RunILb1ELNS_10TailNumberE1ENS4_INS5_IJNS6_INS5_IJiiEEENS5_IJiSD_EEELb0EEENSL_IS2I_Lb0EEENSJ_IiEEEEENS5_IJSV_S29_NSU_IJLi1EEEEEEENS5_IJNSU_IJLi1ELi2EEEENSU_IJLi3ELi4EEEESY_EEENSU_IJLi3ELi5ELi4EEEElEES1F_NS_35ThreadGroupTensorSliceTransfer_v4r1INS_15ThisThreadBlockILi256EEENS_16tensor_operation12element_wise11PassThroughES30_LNS_25InMemoryDataOperationEnumE0ENSU_IJLi8ELi256ELi16EEEENSU_IJLi8ELi32ELi1EEEENSU_IJLi1ELi0ELi2EEEES2_S2_RKS2U_KS1F_S34_NSU_IJLi0ELi1ELi2EEEELi2ELi2ELi16ELi16ELi1ELi1ELb0ELb1ELi2EiEENS_13DynamicBufferILNS_16AddressSpaceEnumE1EKS2_lLb1ELNS_22AmdBufferCoherenceEnumE0EiEENS5_IJNS3A_ILS3B_2ES2_S1E_Lb1ELS3D_0EiEES3F_EEENS5_IJiiiEEENS4_INS5_IJNS6_INS5_IJiiiiEEENS5_IJiiiSD_EEELb0EEEEEES1M_S1O_S1N_lEENS_32ThreadwiseTensorSliceTransfer_v2IS3_S3_RKS3M_KS1Q_NSU_IJLi4ELi1ELi2ELi32EEEENSU_IJLi1ELi2ELi0ELi3EEEELi3ELi32ELi0ELb1ELb0ELb0EEENS3A_ILS3B_1EKS3_lLb1ELS3D_0EiEENS5_IJNS_12StaticBufferILS3B_4ES3_Li256ELb1EEES3X_EEES3I_NS_25StaticBufferTupleOfVectorILS3B_4EfLi32ELi8ELb1ELb0EEEEEvRKT1_RKT2_RT3_RKT4_RT5_RKT6_RKT7_RT8_RKT9_RT10_RKT11_RT12_i.num_named_barrier, max(0, .L_ZNK2ck44ThreadwiseTensorSliceTransfer_StaticToStaticINS_7pk_i4_tENS_9f8_fnuz_tEKNS_16TensorDescriptorINS_5TupleIJNS_7UnMergeINS4_IJNS_17integral_constantIiLi4EEENS6_IiLi1EEENS6_IiLi2EEENS6_IiLi32EEEEEELb0EEEEEENS4_IJNS_8SequenceIJLi0EEEEEEENS4_IJNSE_IJLi1ELi2ELi3ELi4EEEEEEESH_NS6_IlLl256EEEEESL_NS_16tensor_operation12element_wise11PassThroughENSE_IJLi4ELi1ELi2ELi32EEEENSE_IJLi1ELi2ELi0ELi3EEEELi3ELi32ELb0EE3RunINS4_IJNS6_IiLi0EEEST_ST_ST_EEESU_NS_12StaticBufferILNS_16AddressSpaceEnumE4ES1_Li256ELb1EEENSV_ILSW_4ES2_Li256ELb1EEEEEvRSL_RKT_RKT1_SZ_RKT0_RT2_.num_named_barrier)
	.set .L_ZNK2ck52BlockwiseGemmXdlops_pipeline_bpreshuffle_bdequant_v3ILNS_26BlockGemmPipelineSchedulerE0ELi256ENS_9f8_fnuz_tENS_7pk_i4_tES2_fNS_16TensorDescriptorINS_5TupleIJNS_5EmbedINS5_IJNS_17integral_constantIiLi8EEENS7_IiLi256EEENS7_IiLi16EEEEEENS5_IJSA_NS7_IiLi128EEENS7_IiLi1EEEEEELb0EEENS_3XorINS5_IJS9_S8_EEELb1EEENS_11PassThroughISA_EENS_7UnMergeINS5_IJS8_SD_EEELb0EEENSJ_IS9_EESK_NSJ_IS8_EENS_21Merge_v3_division_modINS5_IJS9_SD_EEEEESK_EEENS5_IJNS_8SequenceIJLi0EEEENSU_IJLi2ELi1EEEENSU_IJLi3EEEENSU_IJLi5EEEENSU_IJLi4EEEENSU_IJLi6EEEENSU_IJLi7EEEENSU_IJLi9ELi8EEEENSU_IJLi10EEEEEEENS5_IJNSU_IJLi1ELi2ELi3EEEENSU_IJLi4ELi5EEEES10_NSU_IJLi7ELi8EEEENSU_IJLi9EEEES13_NSU_IJLi11EEEENSU_IJLi12EEEENSU_IJLi13EEEEEEENSU_IJLi11ELi12ELi13EEEENS7_IlLl32768EEEEENS4_INS5_IJNSL_INS5_IJNS7_IiLi4EEESD_NS7_IiLi2EEENS7_IiLi32EEEEEELb0EEEEEENS5_IJSV_EEENS5_IJNSU_IJLi1ELi2ELi3ELi4EEEEEEES1N_NS7_IlLl256EEEEENS4_INS5_IJSF_SI_SK_SN_SO_SK_SP_SS_SK_NSQ_INS5_IJS8_SA_EEEEENSL_INS5_IJS8_S1H_SA_EEELb0EEEEEENS5_IJSV_SW_SX_SY_SZ_S10_S11_S12_S13_NSU_IJLi11ELi13EEEES1A_EEENS5_IJS15_S16_S10_S17_S18_S13_S19_S1A_S1B_NSU_IJLi14EEEENSU_IJLi15ELi16ELi17EEEEEEENSU_IJLi15ELi16ELi17ELi14EEEES1E_EENS4_INS5_IJS1K_NSQ_INS5_IJS1G_S1H_EEEEENSL_INS5_IJS1G_S1G_SA_EEELb0EEEEEENS5_IJSV_NSU_IJLi1ELi3EEEENSU_IJLi2EEEEEEENS5_IJS1N_SY_NSU_IJLi6ELi7ELi8EEEEEEENSU_IJLi6ELi7ELi8ELi5EEEES1P_EELi16ELi32ELi256ELi256ELi128ELi16ELi16ELi8ELi4ELi32ELb0EE3RunILb1ELNS_10TailNumberE1ENS4_INS5_IJNS6_INS5_IJiiEEENS5_IJiSD_EEELb0EEENSL_IS2I_Lb0EEENSJ_IiEEEEENS5_IJSV_S29_NSU_IJLi1EEEEEEENS5_IJNSU_IJLi1ELi2EEEENSU_IJLi3ELi4EEEESY_EEENSU_IJLi3ELi5ELi4EEEElEES1F_NS_35ThreadGroupTensorSliceTransfer_v4r1INS_15ThisThreadBlockILi256EEENS_16tensor_operation12element_wise11PassThroughES30_LNS_25InMemoryDataOperationEnumE0ENSU_IJLi8ELi256ELi16EEEENSU_IJLi8ELi32ELi1EEEENSU_IJLi1ELi0ELi2EEEES2_S2_RKS2U_KS1F_S34_NSU_IJLi0ELi1ELi2EEEELi2ELi2ELi16ELi16ELi1ELi1ELb0ELb1ELi2EiEENS_13DynamicBufferILNS_16AddressSpaceEnumE1EKS2_lLb1ELNS_22AmdBufferCoherenceEnumE0EiEENS5_IJNS3A_ILS3B_2ES2_S1E_Lb1ELS3D_0EiEES3F_EEENS5_IJiiiEEENS4_INS5_IJNS6_INS5_IJiiiiEEENS5_IJiiiSD_EEELb0EEEEEES1M_S1O_S1N_lEENS_32ThreadwiseTensorSliceTransfer_v2IS3_S3_RKS3M_KS1Q_NSU_IJLi4ELi1ELi2ELi32EEEENSU_IJLi1ELi2ELi0ELi3EEEELi3ELi32ELi0ELb1ELb0ELb0EEENS3A_ILS3B_1EKS3_lLb1ELS3D_0EiEENS5_IJNS_12StaticBufferILS3B_4ES3_Li256ELb1EEES3X_EEES3I_NS_25StaticBufferTupleOfVectorILS3B_4EfLi32ELi8ELb1ELb0EEEEEvRKT1_RKT2_RT3_RKT4_RT5_RKT6_RKT7_RT8_RKT9_RT10_RKT11_RT12_i.private_seg_size, 1040+max(.L_ZNK2ck44ThreadwiseTensorSliceTransfer_StaticToStaticINS_7pk_i4_tENS_9f8_fnuz_tEKNS_16TensorDescriptorINS_5TupleIJNS_7UnMergeINS4_IJNS_17integral_constantIiLi4EEENS6_IiLi1EEENS6_IiLi2EEENS6_IiLi32EEEEEELb0EEEEEENS4_IJNS_8SequenceIJLi0EEEEEEENS4_IJNSE_IJLi1ELi2ELi3ELi4EEEEEEESH_NS6_IlLl256EEEEESL_NS_16tensor_operation12element_wise11PassThroughENSE_IJLi4ELi1ELi2ELi32EEEENSE_IJLi1ELi2ELi0ELi3EEEELi3ELi32ELb0EE3RunINS4_IJNS6_IiLi0EEEST_ST_ST_EEESU_NS_12StaticBufferILNS_16AddressSpaceEnumE4ES1_Li256ELb1EEENSV_ILSW_4ES2_Li256ELb1EEEEEvRSL_RKT_RKT1_SZ_RKT0_RT2_.private_seg_size)
	.set .L_ZNK2ck52BlockwiseGemmXdlops_pipeline_bpreshuffle_bdequant_v3ILNS_26BlockGemmPipelineSchedulerE0ELi256ENS_9f8_fnuz_tENS_7pk_i4_tES2_fNS_16TensorDescriptorINS_5TupleIJNS_5EmbedINS5_IJNS_17integral_constantIiLi8EEENS7_IiLi256EEENS7_IiLi16EEEEEENS5_IJSA_NS7_IiLi128EEENS7_IiLi1EEEEEELb0EEENS_3XorINS5_IJS9_S8_EEELb1EEENS_11PassThroughISA_EENS_7UnMergeINS5_IJS8_SD_EEELb0EEENSJ_IS9_EESK_NSJ_IS8_EENS_21Merge_v3_division_modINS5_IJS9_SD_EEEEESK_EEENS5_IJNS_8SequenceIJLi0EEEENSU_IJLi2ELi1EEEENSU_IJLi3EEEENSU_IJLi5EEEENSU_IJLi4EEEENSU_IJLi6EEEENSU_IJLi7EEEENSU_IJLi9ELi8EEEENSU_IJLi10EEEEEEENS5_IJNSU_IJLi1ELi2ELi3EEEENSU_IJLi4ELi5EEEES10_NSU_IJLi7ELi8EEEENSU_IJLi9EEEES13_NSU_IJLi11EEEENSU_IJLi12EEEENSU_IJLi13EEEEEEENSU_IJLi11ELi12ELi13EEEENS7_IlLl32768EEEEENS4_INS5_IJNSL_INS5_IJNS7_IiLi4EEESD_NS7_IiLi2EEENS7_IiLi32EEEEEELb0EEEEEENS5_IJSV_EEENS5_IJNSU_IJLi1ELi2ELi3ELi4EEEEEEES1N_NS7_IlLl256EEEEENS4_INS5_IJSF_SI_SK_SN_SO_SK_SP_SS_SK_NSQ_INS5_IJS8_SA_EEEEENSL_INS5_IJS8_S1H_SA_EEELb0EEEEEENS5_IJSV_SW_SX_SY_SZ_S10_S11_S12_S13_NSU_IJLi11ELi13EEEES1A_EEENS5_IJS15_S16_S10_S17_S18_S13_S19_S1A_S1B_NSU_IJLi14EEEENSU_IJLi15ELi16ELi17EEEEEEENSU_IJLi15ELi16ELi17ELi14EEEES1E_EENS4_INS5_IJS1K_NSQ_INS5_IJS1G_S1H_EEEEENSL_INS5_IJS1G_S1G_SA_EEELb0EEEEEENS5_IJSV_NSU_IJLi1ELi3EEEENSU_IJLi2EEEEEEENS5_IJS1N_SY_NSU_IJLi6ELi7ELi8EEEEEEENSU_IJLi6ELi7ELi8ELi5EEEES1P_EELi16ELi32ELi256ELi256ELi128ELi16ELi16ELi8ELi4ELi32ELb0EE3RunILb1ELNS_10TailNumberE1ENS4_INS5_IJNS6_INS5_IJiiEEENS5_IJiSD_EEELb0EEENSL_IS2I_Lb0EEENSJ_IiEEEEENS5_IJSV_S29_NSU_IJLi1EEEEEEENS5_IJNSU_IJLi1ELi2EEEENSU_IJLi3ELi4EEEESY_EEENSU_IJLi3ELi5ELi4EEEElEES1F_NS_35ThreadGroupTensorSliceTransfer_v4r1INS_15ThisThreadBlockILi256EEENS_16tensor_operation12element_wise11PassThroughES30_LNS_25InMemoryDataOperationEnumE0ENSU_IJLi8ELi256ELi16EEEENSU_IJLi8ELi32ELi1EEEENSU_IJLi1ELi0ELi2EEEES2_S2_RKS2U_KS1F_S34_NSU_IJLi0ELi1ELi2EEEELi2ELi2ELi16ELi16ELi1ELi1ELb0ELb1ELi2EiEENS_13DynamicBufferILNS_16AddressSpaceEnumE1EKS2_lLb1ELNS_22AmdBufferCoherenceEnumE0EiEENS5_IJNS3A_ILS3B_2ES2_S1E_Lb1ELS3D_0EiEES3F_EEENS5_IJiiiEEENS4_INS5_IJNS6_INS5_IJiiiiEEENS5_IJiiiSD_EEELb0EEEEEES1M_S1O_S1N_lEENS_32ThreadwiseTensorSliceTransfer_v2IS3_S3_RKS3M_KS1Q_NSU_IJLi4ELi1ELi2ELi32EEEENSU_IJLi1ELi2ELi0ELi3EEEELi3ELi32ELi0ELb1ELb0ELb0EEENS3A_ILS3B_1EKS3_lLb1ELS3D_0EiEENS5_IJNS_12StaticBufferILS3B_4ES3_Li256ELb1EEES3X_EEES3I_NS_25StaticBufferTupleOfVectorILS3B_4EfLi32ELi8ELb1ELb0EEEEEvRKT1_RKT2_RT3_RKT4_RT5_RKT6_RKT7_RT8_RKT9_RT10_RKT11_RT12_i.uses_vcc, or(1, .L_ZNK2ck44ThreadwiseTensorSliceTransfer_StaticToStaticINS_7pk_i4_tENS_9f8_fnuz_tEKNS_16TensorDescriptorINS_5TupleIJNS_7UnMergeINS4_IJNS_17integral_constantIiLi4EEENS6_IiLi1EEENS6_IiLi2EEENS6_IiLi32EEEEEELb0EEEEEENS4_IJNS_8SequenceIJLi0EEEEEEENS4_IJNSE_IJLi1ELi2ELi3ELi4EEEEEEESH_NS6_IlLl256EEEEESL_NS_16tensor_operation12element_wise11PassThroughENSE_IJLi4ELi1ELi2ELi32EEEENSE_IJLi1ELi2ELi0ELi3EEEELi3ELi32ELb0EE3RunINS4_IJNS6_IiLi0EEEST_ST_ST_EEESU_NS_12StaticBufferILNS_16AddressSpaceEnumE4ES1_Li256ELb1EEENSV_ILSW_4ES2_Li256ELb1EEEEEvRSL_RKT_RKT1_SZ_RKT0_RT2_.uses_vcc)
	.set .L_ZNK2ck52BlockwiseGemmXdlops_pipeline_bpreshuffle_bdequant_v3ILNS_26BlockGemmPipelineSchedulerE0ELi256ENS_9f8_fnuz_tENS_7pk_i4_tES2_fNS_16TensorDescriptorINS_5TupleIJNS_5EmbedINS5_IJNS_17integral_constantIiLi8EEENS7_IiLi256EEENS7_IiLi16EEEEEENS5_IJSA_NS7_IiLi128EEENS7_IiLi1EEEEEELb0EEENS_3XorINS5_IJS9_S8_EEELb1EEENS_11PassThroughISA_EENS_7UnMergeINS5_IJS8_SD_EEELb0EEENSJ_IS9_EESK_NSJ_IS8_EENS_21Merge_v3_division_modINS5_IJS9_SD_EEEEESK_EEENS5_IJNS_8SequenceIJLi0EEEENSU_IJLi2ELi1EEEENSU_IJLi3EEEENSU_IJLi5EEEENSU_IJLi4EEEENSU_IJLi6EEEENSU_IJLi7EEEENSU_IJLi9ELi8EEEENSU_IJLi10EEEEEEENS5_IJNSU_IJLi1ELi2ELi3EEEENSU_IJLi4ELi5EEEES10_NSU_IJLi7ELi8EEEENSU_IJLi9EEEES13_NSU_IJLi11EEEENSU_IJLi12EEEENSU_IJLi13EEEEEEENSU_IJLi11ELi12ELi13EEEENS7_IlLl32768EEEEENS4_INS5_IJNSL_INS5_IJNS7_IiLi4EEESD_NS7_IiLi2EEENS7_IiLi32EEEEEELb0EEEEEENS5_IJSV_EEENS5_IJNSU_IJLi1ELi2ELi3ELi4EEEEEEES1N_NS7_IlLl256EEEEENS4_INS5_IJSF_SI_SK_SN_SO_SK_SP_SS_SK_NSQ_INS5_IJS8_SA_EEEEENSL_INS5_IJS8_S1H_SA_EEELb0EEEEEENS5_IJSV_SW_SX_SY_SZ_S10_S11_S12_S13_NSU_IJLi11ELi13EEEES1A_EEENS5_IJS15_S16_S10_S17_S18_S13_S19_S1A_S1B_NSU_IJLi14EEEENSU_IJLi15ELi16ELi17EEEEEEENSU_IJLi15ELi16ELi17ELi14EEEES1E_EENS4_INS5_IJS1K_NSQ_INS5_IJS1G_S1H_EEEEENSL_INS5_IJS1G_S1G_SA_EEELb0EEEEEENS5_IJSV_NSU_IJLi1ELi3EEEENSU_IJLi2EEEEEEENS5_IJS1N_SY_NSU_IJLi6ELi7ELi8EEEEEEENSU_IJLi6ELi7ELi8ELi5EEEES1P_EELi16ELi32ELi256ELi256ELi128ELi16ELi16ELi8ELi4ELi32ELb0EE3RunILb1ELNS_10TailNumberE1ENS4_INS5_IJNS6_INS5_IJiiEEENS5_IJiSD_EEELb0EEENSL_IS2I_Lb0EEENSJ_IiEEEEENS5_IJSV_S29_NSU_IJLi1EEEEEEENS5_IJNSU_IJLi1ELi2EEEENSU_IJLi3ELi4EEEESY_EEENSU_IJLi3ELi5ELi4EEEElEES1F_NS_35ThreadGroupTensorSliceTransfer_v4r1INS_15ThisThreadBlockILi256EEENS_16tensor_operation12element_wise11PassThroughES30_LNS_25InMemoryDataOperationEnumE0ENSU_IJLi8ELi256ELi16EEEENSU_IJLi8ELi32ELi1EEEENSU_IJLi1ELi0ELi2EEEES2_S2_RKS2U_KS1F_S34_NSU_IJLi0ELi1ELi2EEEELi2ELi2ELi16ELi16ELi1ELi1ELb0ELb1ELi2EiEENS_13DynamicBufferILNS_16AddressSpaceEnumE1EKS2_lLb1ELNS_22AmdBufferCoherenceEnumE0EiEENS5_IJNS3A_ILS3B_2ES2_S1E_Lb1ELS3D_0EiEES3F_EEENS5_IJiiiEEENS4_INS5_IJNS6_INS5_IJiiiiEEENS5_IJiiiSD_EEELb0EEEEEES1M_S1O_S1N_lEENS_32ThreadwiseTensorSliceTransfer_v2IS3_S3_RKS3M_KS1Q_NSU_IJLi4ELi1ELi2ELi32EEEENSU_IJLi1ELi2ELi0ELi3EEEELi3ELi32ELi0ELb1ELb0ELb0EEENS3A_ILS3B_1EKS3_lLb1ELS3D_0EiEENS5_IJNS_12StaticBufferILS3B_4ES3_Li256ELb1EEES3X_EEES3I_NS_25StaticBufferTupleOfVectorILS3B_4EfLi32ELi8ELb1ELb0EEEEEvRKT1_RKT2_RT3_RKT4_RT5_RKT6_RKT7_RT8_RKT9_RT10_RKT11_RT12_i.uses_flat_scratch, or(1, .L_ZNK2ck44ThreadwiseTensorSliceTransfer_StaticToStaticINS_7pk_i4_tENS_9f8_fnuz_tEKNS_16TensorDescriptorINS_5TupleIJNS_7UnMergeINS4_IJNS_17integral_constantIiLi4EEENS6_IiLi1EEENS6_IiLi2EEENS6_IiLi32EEEEEELb0EEEEEENS4_IJNS_8SequenceIJLi0EEEEEEENS4_IJNSE_IJLi1ELi2ELi3ELi4EEEEEEESH_NS6_IlLl256EEEEESL_NS_16tensor_operation12element_wise11PassThroughENSE_IJLi4ELi1ELi2ELi32EEEENSE_IJLi1ELi2ELi0ELi3EEEELi3ELi32ELb0EE3RunINS4_IJNS6_IiLi0EEEST_ST_ST_EEESU_NS_12StaticBufferILNS_16AddressSpaceEnumE4ES1_Li256ELb1EEENSV_ILSW_4ES2_Li256ELb1EEEEEvRSL_RKT_RKT1_SZ_RKT0_RT2_.uses_flat_scratch)
	.set .L_ZNK2ck52BlockwiseGemmXdlops_pipeline_bpreshuffle_bdequant_v3ILNS_26BlockGemmPipelineSchedulerE0ELi256ENS_9f8_fnuz_tENS_7pk_i4_tES2_fNS_16TensorDescriptorINS_5TupleIJNS_5EmbedINS5_IJNS_17integral_constantIiLi8EEENS7_IiLi256EEENS7_IiLi16EEEEEENS5_IJSA_NS7_IiLi128EEENS7_IiLi1EEEEEELb0EEENS_3XorINS5_IJS9_S8_EEELb1EEENS_11PassThroughISA_EENS_7UnMergeINS5_IJS8_SD_EEELb0EEENSJ_IS9_EESK_NSJ_IS8_EENS_21Merge_v3_division_modINS5_IJS9_SD_EEEEESK_EEENS5_IJNS_8SequenceIJLi0EEEENSU_IJLi2ELi1EEEENSU_IJLi3EEEENSU_IJLi5EEEENSU_IJLi4EEEENSU_IJLi6EEEENSU_IJLi7EEEENSU_IJLi9ELi8EEEENSU_IJLi10EEEEEEENS5_IJNSU_IJLi1ELi2ELi3EEEENSU_IJLi4ELi5EEEES10_NSU_IJLi7ELi8EEEENSU_IJLi9EEEES13_NSU_IJLi11EEEENSU_IJLi12EEEENSU_IJLi13EEEEEEENSU_IJLi11ELi12ELi13EEEENS7_IlLl32768EEEEENS4_INS5_IJNSL_INS5_IJNS7_IiLi4EEESD_NS7_IiLi2EEENS7_IiLi32EEEEEELb0EEEEEENS5_IJSV_EEENS5_IJNSU_IJLi1ELi2ELi3ELi4EEEEEEES1N_NS7_IlLl256EEEEENS4_INS5_IJSF_SI_SK_SN_SO_SK_SP_SS_SK_NSQ_INS5_IJS8_SA_EEEEENSL_INS5_IJS8_S1H_SA_EEELb0EEEEEENS5_IJSV_SW_SX_SY_SZ_S10_S11_S12_S13_NSU_IJLi11ELi13EEEES1A_EEENS5_IJS15_S16_S10_S17_S18_S13_S19_S1A_S1B_NSU_IJLi14EEEENSU_IJLi15ELi16ELi17EEEEEEENSU_IJLi15ELi16ELi17ELi14EEEES1E_EENS4_INS5_IJS1K_NSQ_INS5_IJS1G_S1H_EEEEENSL_INS5_IJS1G_S1G_SA_EEELb0EEEEEENS5_IJSV_NSU_IJLi1ELi3EEEENSU_IJLi2EEEEEEENS5_IJS1N_SY_NSU_IJLi6ELi7ELi8EEEEEEENSU_IJLi6ELi7ELi8ELi5EEEES1P_EELi16ELi32ELi256ELi256ELi128ELi16ELi16ELi8ELi4ELi32ELb0EE3RunILb1ELNS_10TailNumberE1ENS4_INS5_IJNS6_INS5_IJiiEEENS5_IJiSD_EEELb0EEENSL_IS2I_Lb0EEENSJ_IiEEEEENS5_IJSV_S29_NSU_IJLi1EEEEEEENS5_IJNSU_IJLi1ELi2EEEENSU_IJLi3ELi4EEEESY_EEENSU_IJLi3ELi5ELi4EEEElEES1F_NS_35ThreadGroupTensorSliceTransfer_v4r1INS_15ThisThreadBlockILi256EEENS_16tensor_operation12element_wise11PassThroughES30_LNS_25InMemoryDataOperationEnumE0ENSU_IJLi8ELi256ELi16EEEENSU_IJLi8ELi32ELi1EEEENSU_IJLi1ELi0ELi2EEEES2_S2_RKS2U_KS1F_S34_NSU_IJLi0ELi1ELi2EEEELi2ELi2ELi16ELi16ELi1ELi1ELb0ELb1ELi2EiEENS_13DynamicBufferILNS_16AddressSpaceEnumE1EKS2_lLb1ELNS_22AmdBufferCoherenceEnumE0EiEENS5_IJNS3A_ILS3B_2ES2_S1E_Lb1ELS3D_0EiEES3F_EEENS5_IJiiiEEENS4_INS5_IJNS6_INS5_IJiiiiEEENS5_IJiiiSD_EEELb0EEEEEES1M_S1O_S1N_lEENS_32ThreadwiseTensorSliceTransfer_v2IS3_S3_RKS3M_KS1Q_NSU_IJLi4ELi1ELi2ELi32EEEENSU_IJLi1ELi2ELi0ELi3EEEELi3ELi32ELi0ELb1ELb0ELb0EEENS3A_ILS3B_1EKS3_lLb1ELS3D_0EiEENS5_IJNS_12StaticBufferILS3B_4ES3_Li256ELb1EEES3X_EEES3I_NS_25StaticBufferTupleOfVectorILS3B_4EfLi32ELi8ELb1ELb0EEEEEvRKT1_RKT2_RT3_RKT4_RT5_RKT6_RKT7_RT8_RKT9_RT10_RKT11_RT12_i.has_dyn_sized_stack, or(0, .L_ZNK2ck44ThreadwiseTensorSliceTransfer_StaticToStaticINS_7pk_i4_tENS_9f8_fnuz_tEKNS_16TensorDescriptorINS_5TupleIJNS_7UnMergeINS4_IJNS_17integral_constantIiLi4EEENS6_IiLi1EEENS6_IiLi2EEENS6_IiLi32EEEEEELb0EEEEEENS4_IJNS_8SequenceIJLi0EEEEEEENS4_IJNSE_IJLi1ELi2ELi3ELi4EEEEEEESH_NS6_IlLl256EEEEESL_NS_16tensor_operation12element_wise11PassThroughENSE_IJLi4ELi1ELi2ELi32EEEENSE_IJLi1ELi2ELi0ELi3EEEELi3ELi32ELb0EE3RunINS4_IJNS6_IiLi0EEEST_ST_ST_EEESU_NS_12StaticBufferILNS_16AddressSpaceEnumE4ES1_Li256ELb1EEENSV_ILSW_4ES2_Li256ELb1EEEEEvRSL_RKT_RKT1_SZ_RKT0_RT2_.has_dyn_sized_stack)
	.set .L_ZNK2ck52BlockwiseGemmXdlops_pipeline_bpreshuffle_bdequant_v3ILNS_26BlockGemmPipelineSchedulerE0ELi256ENS_9f8_fnuz_tENS_7pk_i4_tES2_fNS_16TensorDescriptorINS_5TupleIJNS_5EmbedINS5_IJNS_17integral_constantIiLi8EEENS7_IiLi256EEENS7_IiLi16EEEEEENS5_IJSA_NS7_IiLi128EEENS7_IiLi1EEEEEELb0EEENS_3XorINS5_IJS9_S8_EEELb1EEENS_11PassThroughISA_EENS_7UnMergeINS5_IJS8_SD_EEELb0EEENSJ_IS9_EESK_NSJ_IS8_EENS_21Merge_v3_division_modINS5_IJS9_SD_EEEEESK_EEENS5_IJNS_8SequenceIJLi0EEEENSU_IJLi2ELi1EEEENSU_IJLi3EEEENSU_IJLi5EEEENSU_IJLi4EEEENSU_IJLi6EEEENSU_IJLi7EEEENSU_IJLi9ELi8EEEENSU_IJLi10EEEEEEENS5_IJNSU_IJLi1ELi2ELi3EEEENSU_IJLi4ELi5EEEES10_NSU_IJLi7ELi8EEEENSU_IJLi9EEEES13_NSU_IJLi11EEEENSU_IJLi12EEEENSU_IJLi13EEEEEEENSU_IJLi11ELi12ELi13EEEENS7_IlLl32768EEEEENS4_INS5_IJNSL_INS5_IJNS7_IiLi4EEESD_NS7_IiLi2EEENS7_IiLi32EEEEEELb0EEEEEENS5_IJSV_EEENS5_IJNSU_IJLi1ELi2ELi3ELi4EEEEEEES1N_NS7_IlLl256EEEEENS4_INS5_IJSF_SI_SK_SN_SO_SK_SP_SS_SK_NSQ_INS5_IJS8_SA_EEEEENSL_INS5_IJS8_S1H_SA_EEELb0EEEEEENS5_IJSV_SW_SX_SY_SZ_S10_S11_S12_S13_NSU_IJLi11ELi13EEEES1A_EEENS5_IJS15_S16_S10_S17_S18_S13_S19_S1A_S1B_NSU_IJLi14EEEENSU_IJLi15ELi16ELi17EEEEEEENSU_IJLi15ELi16ELi17ELi14EEEES1E_EENS4_INS5_IJS1K_NSQ_INS5_IJS1G_S1H_EEEEENSL_INS5_IJS1G_S1G_SA_EEELb0EEEEEENS5_IJSV_NSU_IJLi1ELi3EEEENSU_IJLi2EEEEEEENS5_IJS1N_SY_NSU_IJLi6ELi7ELi8EEEEEEENSU_IJLi6ELi7ELi8ELi5EEEES1P_EELi16ELi32ELi256ELi256ELi128ELi16ELi16ELi8ELi4ELi32ELb0EE3RunILb1ELNS_10TailNumberE1ENS4_INS5_IJNS6_INS5_IJiiEEENS5_IJiSD_EEELb0EEENSL_IS2I_Lb0EEENSJ_IiEEEEENS5_IJSV_S29_NSU_IJLi1EEEEEEENS5_IJNSU_IJLi1ELi2EEEENSU_IJLi3ELi4EEEESY_EEENSU_IJLi3ELi5ELi4EEEElEES1F_NS_35ThreadGroupTensorSliceTransfer_v4r1INS_15ThisThreadBlockILi256EEENS_16tensor_operation12element_wise11PassThroughES30_LNS_25InMemoryDataOperationEnumE0ENSU_IJLi8ELi256ELi16EEEENSU_IJLi8ELi32ELi1EEEENSU_IJLi1ELi0ELi2EEEES2_S2_RKS2U_KS1F_S34_NSU_IJLi0ELi1ELi2EEEELi2ELi2ELi16ELi16ELi1ELi1ELb0ELb1ELi2EiEENS_13DynamicBufferILNS_16AddressSpaceEnumE1EKS2_lLb1ELNS_22AmdBufferCoherenceEnumE0EiEENS5_IJNS3A_ILS3B_2ES2_S1E_Lb1ELS3D_0EiEES3F_EEENS5_IJiiiEEENS4_INS5_IJNS6_INS5_IJiiiiEEENS5_IJiiiSD_EEELb0EEEEEES1M_S1O_S1N_lEENS_32ThreadwiseTensorSliceTransfer_v2IS3_S3_RKS3M_KS1Q_NSU_IJLi4ELi1ELi2ELi32EEEENSU_IJLi1ELi2ELi0ELi3EEEELi3ELi32ELi0ELb1ELb0ELb0EEENS3A_ILS3B_1EKS3_lLb1ELS3D_0EiEENS5_IJNS_12StaticBufferILS3B_4ES3_Li256ELb1EEES3X_EEES3I_NS_25StaticBufferTupleOfVectorILS3B_4EfLi32ELi8ELb1ELb0EEEEEvRKT1_RKT2_RT3_RKT4_RT5_RKT6_RKT7_RT8_RKT9_RT10_RKT11_RT12_i.has_recursion, or(0, .L_ZNK2ck44ThreadwiseTensorSliceTransfer_StaticToStaticINS_7pk_i4_tENS_9f8_fnuz_tEKNS_16TensorDescriptorINS_5TupleIJNS_7UnMergeINS4_IJNS_17integral_constantIiLi4EEENS6_IiLi1EEENS6_IiLi2EEENS6_IiLi32EEEEEELb0EEEEEENS4_IJNS_8SequenceIJLi0EEEEEEENS4_IJNSE_IJLi1ELi2ELi3ELi4EEEEEEESH_NS6_IlLl256EEEEESL_NS_16tensor_operation12element_wise11PassThroughENSE_IJLi4ELi1ELi2ELi32EEEENSE_IJLi1ELi2ELi0ELi3EEEELi3ELi32ELb0EE3RunINS4_IJNS6_IiLi0EEEST_ST_ST_EEESU_NS_12StaticBufferILNS_16AddressSpaceEnumE4ES1_Li256ELb1EEENSV_ILSW_4ES2_Li256ELb1EEEEEvRSL_RKT_RKT1_SZ_RKT0_RT2_.has_recursion)
	.set .L_ZNK2ck52BlockwiseGemmXdlops_pipeline_bpreshuffle_bdequant_v3ILNS_26BlockGemmPipelineSchedulerE0ELi256ENS_9f8_fnuz_tENS_7pk_i4_tES2_fNS_16TensorDescriptorINS_5TupleIJNS_5EmbedINS5_IJNS_17integral_constantIiLi8EEENS7_IiLi256EEENS7_IiLi16EEEEEENS5_IJSA_NS7_IiLi128EEENS7_IiLi1EEEEEELb0EEENS_3XorINS5_IJS9_S8_EEELb1EEENS_11PassThroughISA_EENS_7UnMergeINS5_IJS8_SD_EEELb0EEENSJ_IS9_EESK_NSJ_IS8_EENS_21Merge_v3_division_modINS5_IJS9_SD_EEEEESK_EEENS5_IJNS_8SequenceIJLi0EEEENSU_IJLi2ELi1EEEENSU_IJLi3EEEENSU_IJLi5EEEENSU_IJLi4EEEENSU_IJLi6EEEENSU_IJLi7EEEENSU_IJLi9ELi8EEEENSU_IJLi10EEEEEEENS5_IJNSU_IJLi1ELi2ELi3EEEENSU_IJLi4ELi5EEEES10_NSU_IJLi7ELi8EEEENSU_IJLi9EEEES13_NSU_IJLi11EEEENSU_IJLi12EEEENSU_IJLi13EEEEEEENSU_IJLi11ELi12ELi13EEEENS7_IlLl32768EEEEENS4_INS5_IJNSL_INS5_IJNS7_IiLi4EEESD_NS7_IiLi2EEENS7_IiLi32EEEEEELb0EEEEEENS5_IJSV_EEENS5_IJNSU_IJLi1ELi2ELi3ELi4EEEEEEES1N_NS7_IlLl256EEEEENS4_INS5_IJSF_SI_SK_SN_SO_SK_SP_SS_SK_NSQ_INS5_IJS8_SA_EEEEENSL_INS5_IJS8_S1H_SA_EEELb0EEEEEENS5_IJSV_SW_SX_SY_SZ_S10_S11_S12_S13_NSU_IJLi11ELi13EEEES1A_EEENS5_IJS15_S16_S10_S17_S18_S13_S19_S1A_S1B_NSU_IJLi14EEEENSU_IJLi15ELi16ELi17EEEEEEENSU_IJLi15ELi16ELi17ELi14EEEES1E_EENS4_INS5_IJS1K_NSQ_INS5_IJS1G_S1H_EEEEENSL_INS5_IJS1G_S1G_SA_EEELb0EEEEEENS5_IJSV_NSU_IJLi1ELi3EEEENSU_IJLi2EEEEEEENS5_IJS1N_SY_NSU_IJLi6ELi7ELi8EEEEEEENSU_IJLi6ELi7ELi8ELi5EEEES1P_EELi16ELi32ELi256ELi256ELi128ELi16ELi16ELi8ELi4ELi32ELb0EE3RunILb1ELNS_10TailNumberE1ENS4_INS5_IJNS6_INS5_IJiiEEENS5_IJiSD_EEELb0EEENSL_IS2I_Lb0EEENSJ_IiEEEEENS5_IJSV_S29_NSU_IJLi1EEEEEEENS5_IJNSU_IJLi1ELi2EEEENSU_IJLi3ELi4EEEESY_EEENSU_IJLi3ELi5ELi4EEEElEES1F_NS_35ThreadGroupTensorSliceTransfer_v4r1INS_15ThisThreadBlockILi256EEENS_16tensor_operation12element_wise11PassThroughES30_LNS_25InMemoryDataOperationEnumE0ENSU_IJLi8ELi256ELi16EEEENSU_IJLi8ELi32ELi1EEEENSU_IJLi1ELi0ELi2EEEES2_S2_RKS2U_KS1F_S34_NSU_IJLi0ELi1ELi2EEEELi2ELi2ELi16ELi16ELi1ELi1ELb0ELb1ELi2EiEENS_13DynamicBufferILNS_16AddressSpaceEnumE1EKS2_lLb1ELNS_22AmdBufferCoherenceEnumE0EiEENS5_IJNS3A_ILS3B_2ES2_S1E_Lb1ELS3D_0EiEES3F_EEENS5_IJiiiEEENS4_INS5_IJNS6_INS5_IJiiiiEEENS5_IJiiiSD_EEELb0EEEEEES1M_S1O_S1N_lEENS_32ThreadwiseTensorSliceTransfer_v2IS3_S3_RKS3M_KS1Q_NSU_IJLi4ELi1ELi2ELi32EEEENSU_IJLi1ELi2ELi0ELi3EEEELi3ELi32ELi0ELb1ELb0ELb0EEENS3A_ILS3B_1EKS3_lLb1ELS3D_0EiEENS5_IJNS_12StaticBufferILS3B_4ES3_Li256ELb1EEES3X_EEES3I_NS_25StaticBufferTupleOfVectorILS3B_4EfLi32ELi8ELb1ELb0EEEEEvRKT1_RKT2_RT3_RKT4_RT5_RKT6_RKT7_RT8_RKT9_RT10_RKT11_RT12_i.has_indirect_call, or(0, .L_ZNK2ck44ThreadwiseTensorSliceTransfer_StaticToStaticINS_7pk_i4_tENS_9f8_fnuz_tEKNS_16TensorDescriptorINS_5TupleIJNS_7UnMergeINS4_IJNS_17integral_constantIiLi4EEENS6_IiLi1EEENS6_IiLi2EEENS6_IiLi32EEEEEELb0EEEEEENS4_IJNS_8SequenceIJLi0EEEEEEENS4_IJNSE_IJLi1ELi2ELi3ELi4EEEEEEESH_NS6_IlLl256EEEEESL_NS_16tensor_operation12element_wise11PassThroughENSE_IJLi4ELi1ELi2ELi32EEEENSE_IJLi1ELi2ELi0ELi3EEEELi3ELi32ELb0EE3RunINS4_IJNS6_IiLi0EEEST_ST_ST_EEESU_NS_12StaticBufferILNS_16AddressSpaceEnumE4ES1_Li256ELb1EEENSV_ILSW_4ES2_Li256ELb1EEEEEvRSL_RKT_RKT1_SZ_RKT0_RT2_.has_indirect_call)
	.section	.AMDGPU.csdata,"",@progbits
; Function info:
; codeLenInByte = 132152
; TotalNumSgprs: 36
; NumVgprs: 152
; ScratchSize: 1040
; MemoryBound: 0
	.section	.text._ZN2ck45kernel_gemm_xdl_cshuffle_v3_b_preshuffle_2ldsINS_41GridwiseGemm_xdl_cshuffle_v3_b_preshuffleINS_13tensor_layout4gemm8RowMajorENS3_11ColumnMajorES4_NS_9f8_fnuz_tENS_7pk_i4_tEfDF16_DF16_NS_16tensor_operation12element_wise11PassThroughESA_SA_LNS8_6device18GemmSpecializationE0ELi256ELi256ELi256ELi128ELi16ELi32ELi16ELi16ELi8ELi4ENS_8SequenceIJLi8ELi32ELi1EEEENSD_IJLi1ELi0ELi2EEEESF_Li2ELi16ELi16ELb0ELi0ENSD_IJLi4ELi64ELi1EEEESF_SF_Li2ELi32ELi32ELb0ELi0ELi1ELi1ENSD_IJLi1ELi32ELi1ELi8EEEELi4ELNS_26BlockGemmPipelineSchedulerE0ELNS_24BlockGemmPipelineVersionE2ES6_S6_Lb0ELb0ELi0EEELb1ELNS_25InMemoryDataOperationEnumE1ELi1ELNS_10TailNumberE1EEEvNT_8ArgumentE,"axG",@progbits,_ZN2ck45kernel_gemm_xdl_cshuffle_v3_b_preshuffle_2ldsINS_41GridwiseGemm_xdl_cshuffle_v3_b_preshuffleINS_13tensor_layout4gemm8RowMajorENS3_11ColumnMajorES4_NS_9f8_fnuz_tENS_7pk_i4_tEfDF16_DF16_NS_16tensor_operation12element_wise11PassThroughESA_SA_LNS8_6device18GemmSpecializationE0ELi256ELi256ELi256ELi128ELi16ELi32ELi16ELi16ELi8ELi4ENS_8SequenceIJLi8ELi32ELi1EEEENSD_IJLi1ELi0ELi2EEEESF_Li2ELi16ELi16ELb0ELi0ENSD_IJLi4ELi64ELi1EEEESF_SF_Li2ELi32ELi32ELb0ELi0ELi1ELi1ENSD_IJLi1ELi32ELi1ELi8EEEELi4ELNS_26BlockGemmPipelineSchedulerE0ELNS_24BlockGemmPipelineVersionE2ES6_S6_Lb0ELb0ELi0EEELb1ELNS_25InMemoryDataOperationEnumE1ELi1ELNS_10TailNumberE1EEEvNT_8ArgumentE,comdat
	.protected	_ZN2ck45kernel_gemm_xdl_cshuffle_v3_b_preshuffle_2ldsINS_41GridwiseGemm_xdl_cshuffle_v3_b_preshuffleINS_13tensor_layout4gemm8RowMajorENS3_11ColumnMajorES4_NS_9f8_fnuz_tENS_7pk_i4_tEfDF16_DF16_NS_16tensor_operation12element_wise11PassThroughESA_SA_LNS8_6device18GemmSpecializationE0ELi256ELi256ELi256ELi128ELi16ELi32ELi16ELi16ELi8ELi4ENS_8SequenceIJLi8ELi32ELi1EEEENSD_IJLi1ELi0ELi2EEEESF_Li2ELi16ELi16ELb0ELi0ENSD_IJLi4ELi64ELi1EEEESF_SF_Li2ELi32ELi32ELb0ELi0ELi1ELi1ENSD_IJLi1ELi32ELi1ELi8EEEELi4ELNS_26BlockGemmPipelineSchedulerE0ELNS_24BlockGemmPipelineVersionE2ES6_S6_Lb0ELb0ELi0EEELb1ELNS_25InMemoryDataOperationEnumE1ELi1ELNS_10TailNumberE1EEEvNT_8ArgumentE ; -- Begin function _ZN2ck45kernel_gemm_xdl_cshuffle_v3_b_preshuffle_2ldsINS_41GridwiseGemm_xdl_cshuffle_v3_b_preshuffleINS_13tensor_layout4gemm8RowMajorENS3_11ColumnMajorES4_NS_9f8_fnuz_tENS_7pk_i4_tEfDF16_DF16_NS_16tensor_operation12element_wise11PassThroughESA_SA_LNS8_6device18GemmSpecializationE0ELi256ELi256ELi256ELi128ELi16ELi32ELi16ELi16ELi8ELi4ENS_8SequenceIJLi8ELi32ELi1EEEENSD_IJLi1ELi0ELi2EEEESF_Li2ELi16ELi16ELb0ELi0ENSD_IJLi4ELi64ELi1EEEESF_SF_Li2ELi32ELi32ELb0ELi0ELi1ELi1ENSD_IJLi1ELi32ELi1ELi8EEEELi4ELNS_26BlockGemmPipelineSchedulerE0ELNS_24BlockGemmPipelineVersionE2ES6_S6_Lb0ELb0ELi0EEELb1ELNS_25InMemoryDataOperationEnumE1ELi1ELNS_10TailNumberE1EEEvNT_8ArgumentE
	.globl	_ZN2ck45kernel_gemm_xdl_cshuffle_v3_b_preshuffle_2ldsINS_41GridwiseGemm_xdl_cshuffle_v3_b_preshuffleINS_13tensor_layout4gemm8RowMajorENS3_11ColumnMajorES4_NS_9f8_fnuz_tENS_7pk_i4_tEfDF16_DF16_NS_16tensor_operation12element_wise11PassThroughESA_SA_LNS8_6device18GemmSpecializationE0ELi256ELi256ELi256ELi128ELi16ELi32ELi16ELi16ELi8ELi4ENS_8SequenceIJLi8ELi32ELi1EEEENSD_IJLi1ELi0ELi2EEEESF_Li2ELi16ELi16ELb0ELi0ENSD_IJLi4ELi64ELi1EEEESF_SF_Li2ELi32ELi32ELb0ELi0ELi1ELi1ENSD_IJLi1ELi32ELi1ELi8EEEELi4ELNS_26BlockGemmPipelineSchedulerE0ELNS_24BlockGemmPipelineVersionE2ES6_S6_Lb0ELb0ELi0EEELb1ELNS_25InMemoryDataOperationEnumE1ELi1ELNS_10TailNumberE1EEEvNT_8ArgumentE
	.p2align	8
	.type	_ZN2ck45kernel_gemm_xdl_cshuffle_v3_b_preshuffle_2ldsINS_41GridwiseGemm_xdl_cshuffle_v3_b_preshuffleINS_13tensor_layout4gemm8RowMajorENS3_11ColumnMajorES4_NS_9f8_fnuz_tENS_7pk_i4_tEfDF16_DF16_NS_16tensor_operation12element_wise11PassThroughESA_SA_LNS8_6device18GemmSpecializationE0ELi256ELi256ELi256ELi128ELi16ELi32ELi16ELi16ELi8ELi4ENS_8SequenceIJLi8ELi32ELi1EEEENSD_IJLi1ELi0ELi2EEEESF_Li2ELi16ELi16ELb0ELi0ENSD_IJLi4ELi64ELi1EEEESF_SF_Li2ELi32ELi32ELb0ELi0ELi1ELi1ENSD_IJLi1ELi32ELi1ELi8EEEELi4ELNS_26BlockGemmPipelineSchedulerE0ELNS_24BlockGemmPipelineVersionE2ES6_S6_Lb0ELb0ELi0EEELb1ELNS_25InMemoryDataOperationEnumE1ELi1ELNS_10TailNumberE1EEEvNT_8ArgumentE,@function
_ZN2ck45kernel_gemm_xdl_cshuffle_v3_b_preshuffle_2ldsINS_41GridwiseGemm_xdl_cshuffle_v3_b_preshuffleINS_13tensor_layout4gemm8RowMajorENS3_11ColumnMajorES4_NS_9f8_fnuz_tENS_7pk_i4_tEfDF16_DF16_NS_16tensor_operation12element_wise11PassThroughESA_SA_LNS8_6device18GemmSpecializationE0ELi256ELi256ELi256ELi128ELi16ELi32ELi16ELi16ELi8ELi4ENS_8SequenceIJLi8ELi32ELi1EEEENSD_IJLi1ELi0ELi2EEEESF_Li2ELi16ELi16ELb0ELi0ENSD_IJLi4ELi64ELi1EEEESF_SF_Li2ELi32ELi32ELb0ELi0ELi1ELi1ENSD_IJLi1ELi32ELi1ELi8EEEELi4ELNS_26BlockGemmPipelineSchedulerE0ELNS_24BlockGemmPipelineVersionE2ES6_S6_Lb0ELb0ELi0EEELb1ELNS_25InMemoryDataOperationEnumE1ELi1ELNS_10TailNumberE1EEEvNT_8ArgumentE: ; @_ZN2ck45kernel_gemm_xdl_cshuffle_v3_b_preshuffle_2ldsINS_41GridwiseGemm_xdl_cshuffle_v3_b_preshuffleINS_13tensor_layout4gemm8RowMajorENS3_11ColumnMajorES4_NS_9f8_fnuz_tENS_7pk_i4_tEfDF16_DF16_NS_16tensor_operation12element_wise11PassThroughESA_SA_LNS8_6device18GemmSpecializationE0ELi256ELi256ELi256ELi128ELi16ELi32ELi16ELi16ELi8ELi4ENS_8SequenceIJLi8ELi32ELi1EEEENSD_IJLi1ELi0ELi2EEEESF_Li2ELi16ELi16ELb0ELi0ENSD_IJLi4ELi64ELi1EEEESF_SF_Li2ELi32ELi32ELb0ELi0ELi1ELi1ENSD_IJLi1ELi32ELi1ELi8EEEELi4ELNS_26BlockGemmPipelineSchedulerE0ELNS_24BlockGemmPipelineVersionE2ES6_S6_Lb0ELb0ELi0EEELb1ELNS_25InMemoryDataOperationEnumE1ELi1ELNS_10TailNumberE1EEEvNT_8ArgumentE
; %bb.0:
	s_clause 0x5
	s_load_b64 s[18:19], s[0:1], 0x24
	s_load_b96 s[4:6], s[0:1], 0x60
	s_load_b128 s[20:23], s[0:1], 0x10
	s_load_b32 s7, s[0:1], 0x34
	s_load_b32 s12, s[0:1], 0x3c
	s_load_b128 s[0:3], s[0:1], 0x50
	s_lshr_b32 s13, ttmp7, 16
	v_mov_b32_e32 v41, v0
	s_mov_b32 s26, ttmp9
	s_movk_i32 s32, 0xd20
	s_wait_kmcnt 0x0
	s_cmp_gt_i32 s19, 1
	s_cselect_b32 s8, -1, 0
	s_bitcmp1_b32 s6, 0
	s_cselect_b32 s6, -1, 0
	s_delay_alu instid0(SALU_CYCLE_1)
	s_and_b32 s6, s8, s6
	s_mov_b64 s[8:9], 0
	s_and_not1_b32 vcc_lo, exec_lo, s6
	s_cbranch_vccnz .LBB9_2
; %bb.1:
	s_mul_i32 s6, s20, s13
	s_delay_alu instid0(SALU_CYCLE_1) | instskip(NEXT) | instid1(SALU_CYCLE_1)
	s_mul_i32 s8, s6, s21
	s_ashr_i32 s9, s8, 31
.LBB9_2:
	s_add_co_i32 s6, s19, -1
	s_mul_i32 s14, s7, s13
	s_mul_i32 s10, s6, s7
	v_dual_mov_b32 v0, 0 :: v_dual_mov_b32 v1, s20
	s_sub_co_i32 s10, s22, s10
	s_cmp_lt_u32 s13, s6
	s_mov_b32 s6, 0
	s_cselect_b32 s10, s7, s10
	s_add_co_i32 s7, s22, 63
	s_ashr_i32 s15, s14, 31
	s_ashr_i32 s11, s7, 31
	s_add_nc_u64 s[0:1], s[0:1], s[14:15]
	s_lshr_b32 s11, s11, 26
	s_mov_b32 s14, s23
	s_add_co_i32 s11, s7, s11
	s_mov_b32 s15, s6
	s_add_co_i32 s7, s20, -1
	s_add_co_i32 s19, s21, 15
	s_mul_u64 s[14:15], s[6:7], s[14:15]
	s_ashr_i32 s22, s11, 6
	s_ashr_i32 s17, s15, 31
	;; [unrolled: 1-line block ×3, first 2 shown]
	s_mov_b32 s16, s15
	s_getpc_b64 s[14:15]
	s_sext_i32_i16 s15, s15
	s_add_co_u32 s14, s14, _ZN2ck41GridwiseGemm_xdl_cshuffle_v3_b_preshuffleINS_13tensor_layout4gemm8RowMajorENS2_11ColumnMajorES3_NS_9f8_fnuz_tENS_7pk_i4_tEfDF16_DF16_NS_16tensor_operation12element_wise11PassThroughES9_S9_LNS7_6device18GemmSpecializationE0ELi256ELi256ELi256ELi128ELi16ELi32ELi16ELi16ELi8ELi4ENS_8SequenceIJLi8ELi32ELi1EEEENSC_IJLi1ELi0ELi2EEEESE_Li2ELi16ELi16ELb0ELi0ENSC_IJLi4ELi64ELi1EEEESE_SE_Li2ELi32ELi32ELb0ELi0ELi1ELi1ENSC_IJLi1ELi32ELi1ELi8EEEELi4ELNS_26BlockGemmPipelineSchedulerE0ELNS_24BlockGemmPipelineVersionE2ES5_S5_Lb0ELb0ELi0EE5NWaveE@rel32@lo+8
	s_add_co_ci_u32 s15, s15, _ZN2ck41GridwiseGemm_xdl_cshuffle_v3_b_preshuffleINS_13tensor_layout4gemm8RowMajorENS2_11ColumnMajorES3_NS_9f8_fnuz_tENS_7pk_i4_tEfDF16_DF16_NS_16tensor_operation12element_wise11PassThroughES9_S9_LNS7_6device18GemmSpecializationE0ELi256ELi256ELi256ELi128ELi16ELi32ELi16ELi16ELi8ELi4ENS_8SequenceIJLi8ELi32ELi1EEEENSC_IJLi1ELi0ELi2EEEESE_Li2ELi16ELi16ELb0ELi0ENSC_IJLi4ELi64ELi1EEEESE_SE_Li2ELi32ELi32ELb0ELi0ELi1ELi1ENSC_IJLi1ELi32ELi1ELi8EEEELi4ELNS_26BlockGemmPipelineSchedulerE0ELNS_24BlockGemmPipelineVersionE2ES5_S5_Lb0ELb0ELi0EE5NWaveE@rel32@hi+16
	v_dual_mov_b32 v2, s10 :: v_dual_mov_b32 v3, s23
	s_load_b32 s15, s[14:15], 0x0
	v_mov_b32_e32 v4, 16
	s_add_nc_u64 s[16:17], s[16:17], s[10:11]
	s_mul_i32 s11, s20, s12
	s_ashr_i32 s14, s19, 31
	s_wait_alu 0xfffe
	s_lshl_b32 s11, s11, 4
	s_clause 0x1
	scratch_store_b96 off, v[1:3], off offset:3232
	scratch_store_b32 off, v0, off offset:3244
	v_mov_b32_e32 v3, s12
	s_wait_alu 0xfffe
	v_dual_mov_b32 v5, v4 :: v_dual_mov_b32 v2, s11
	s_lshr_b32 s11, s14, 26
	s_lshl_b32 s14, s22, 10
	s_wait_alu 0xfffe
	s_add_co_i32 s19, s19, s11
	s_lshl_b32 s11, s22, 12
	s_ashr_i32 s19, s19, 6
	s_add_co_i32 s28, s14, 0xfffffc00
	s_add_co_i32 s25, s19, -1
	v_dual_mov_b32 v6, s16 :: v_dual_mov_b32 v7, s17
	s_wait_alu 0xfffe
	s_mul_i32 s27, s25, s11
	s_wait_kmcnt 0x0
	s_add_co_i32 s24, s15, -1
	s_or_b32 s30, s27, 0x400
	s_mul_i32 s27, s14, s19
	s_mul_i32 s24, s24, s14
	s_ashr_i32 s29, s28, 31
	s_ashr_i32 s31, s30, 31
	s_clause 0x3
	scratch_store_b96 off, v[3:5], off offset:3248
	scratch_store_b8 off, v0, off offset:3260
	scratch_store_b64 off, v[1:2], off offset:3264
	scratch_store_b64 off, v[6:7], off offset:3272
	v_dual_mov_b32 v1, s19 :: v_dual_mov_b32 v2, s15
	v_dual_mov_b32 v3, s22 :: v_dual_mov_b32 v4, 0x400
	s_mul_i32 s15, s27, s15
	s_ashr_i32 s25, s24, 31
	s_add_nc_u64 s[28:29], s[30:31], s[28:29]
	s_wait_alu 0xfffe
	v_mov_b32_e32 v5, s15
	s_add_nc_u64 s[24:25], s[28:29], s[24:25]
	scratch_store_b128 off, v[1:4], off offset:3280
	v_dual_mov_b32 v2, s11 :: v_dual_mov_b32 v3, s14
	v_dual_mov_b32 v13, s24 :: v_dual_mov_b32 v6, s1
	;; [unrolled: 1-line block ×5, first 2 shown]
	scratch_store_b32 off, v5, off offset:3312
	v_dual_mov_b32 v5, s0 :: v_dual_mov_b32 v8, s17
	s_cmp_lt_u32 s7, 0x100
	s_clause 0x5
	scratch_store_b96 off, v[2:4], off offset:3296
	scratch_store_b64 off, v[13:14], off offset:3320
	scratch_store_b128 off, v[5:8], off
	scratch_store_b8 off, v0, off offset:16
	scratch_store_b128 off, v[9:12], off offset:24
	scratch_store_b8 off, v0, off offset:40
	s_cbranch_scc1 .LBB9_6
; %bb.3:
	s_add_co_i32 s0, s21, -1
	s_wait_alu 0xfffe
	s_cmp_lt_u32 s0, 0x100
	s_mov_b32 s0, 0
	s_cbranch_scc1 .LBB9_10
; %bb.4:
	s_add_co_i32 s0, s20, 0xff
	s_add_co_i32 s1, s21, 0xff
	s_wait_alu 0xfffe
	s_ashr_i32 s2, s0, 31
	s_ashr_i32 s3, s1, 31
	s_wait_alu 0xfffe
	s_lshr_b32 s2, s2, 24
	s_lshr_b32 s3, s3, 24
	s_wait_alu 0xfffe
	s_add_co_i32 s0, s0, s2
	s_add_co_i32 s2, s1, s3
	s_wait_alu 0xfffe
	s_ashr_i32 s1, s0, 8
	s_ashr_i32 s0, s2, 8
	;; [unrolled: 1-line block ×3, first 2 shown]
	s_wait_alu 0xfffe
	s_mul_i32 s2, s0, s1
	s_wait_alu 0xfffe
	s_add_co_i32 s3, s2, 7
	s_wait_alu 0xfffe
	s_ashr_i32 s15, s3, 31
	s_wait_alu 0xfffe
	s_lshr_b32 s15, s15, 29
	s_wait_alu 0xfffe
	s_add_co_i32 s19, s3, s15
	s_lshr_b32 s3, s16, 29
	s_wait_alu 0xfffe
	s_and_b32 s15, s19, -8
	s_add_co_i32 s17, s26, s3
	s_wait_alu 0xfffe
	s_sub_co_i32 s3, s2, s15
	s_and_b32 s2, s17, -8
	s_wait_alu 0xfffe
	s_add_co_i32 s3, s3, 8
	s_sub_co_i32 s15, s26, s2
	s_ashr_i32 s16, s19, 3
	s_wait_alu 0xfffe
	s_cmp_gt_i32 s15, s3
	s_cbranch_scc1 .LBB9_7
; %bb.5:
	s_mul_i32 s2, s16, s15
	s_ashr_i32 s17, s17, 3
	s_cbranch_execz .LBB9_8
	s_branch .LBB9_9
.LBB9_6:
	s_mov_b32 s27, s6
	s_branch .LBB9_11
.LBB9_7:
                                        ; implicit-def: $sgpr2
	s_ashr_i32 s17, s17, 3
.LBB9_8:
	s_add_co_i32 s2, s16, -1
	s_wait_alu 0xfffe
	s_mul_i32 s2, s2, s15
	s_wait_alu 0xfffe
	s_add_co_i32 s2, s3, s2
.LBB9_9:
	s_abs_i32 s3, s0
	s_wait_alu 0xfffe
	s_add_co_i32 s2, s2, s17
	s_cvt_f32_u32 s15, s3
	s_sub_co_i32 s16, 0, s3
	s_wait_alu 0xfffe
	s_abs_i32 s17, s2
	v_rcp_iflag_f32_e32 v1, s15
	s_delay_alu instid0(TRANS32_DEP_1) | instskip(SKIP_2) | instid1(SALU_CYCLE_2)
	v_readfirstlane_b32 s15, v1
	s_mul_f32 s15, s15, 0x4f7ffffe
	s_wait_alu 0xfffe
	s_cvt_u32_f32 s15, s15
	s_wait_alu 0xfffe
	s_delay_alu instid0(SALU_CYCLE_2)
	s_mul_i32 s16, s16, s15
	s_wait_alu 0xfffe
	s_mul_hi_u32 s16, s15, s16
	s_wait_alu 0xfffe
	s_add_co_i32 s15, s15, s16
	s_xor_b32 s16, s2, s0
	s_wait_alu 0xfffe
	s_mul_hi_u32 s15, s17, s15
	s_ashr_i32 s16, s16, 31
	s_wait_alu 0xfffe
	s_mul_i32 s19, s15, s3
	s_wait_alu 0xfffe
	s_sub_co_i32 s17, s17, s19
	s_add_co_i32 s19, s15, 1
	s_wait_alu 0xfffe
	s_sub_co_i32 s22, s17, s3
	s_cmp_ge_u32 s17, s3
	s_cselect_b32 s15, s19, s15
	s_wait_alu 0xfffe
	s_cselect_b32 s17, s22, s17
	s_add_co_i32 s19, s15, 1
	s_wait_alu 0xfffe
	s_cmp_ge_u32 s17, s3
	s_cselect_b32 s3, s19, s15
	s_lshr_b32 s15, s1, 30
	s_wait_alu 0xfffe
	s_xor_b32 s3, s3, s16
	s_add_co_i32 s15, s1, s15
	s_wait_alu 0xfffe
	s_sub_co_i32 s3, s3, s16
	s_and_b32 s15, s15, -4
	s_wait_alu 0xfffe
	s_mul_i32 s16, s3, s0
	s_sub_co_i32 s1, s1, s15
	s_wait_alu 0xfffe
	s_sub_co_i32 s2, s2, s16
	s_cmp_ge_i32 s3, s15
	s_cselect_b32 s1, s1, 4
	s_ashr_i32 s17, s3, 31
	s_wait_alu 0xfffe
	s_abs_i32 s15, s1
	s_lshr_b32 s17, s17, 30
	s_wait_alu 0xfffe
	s_cvt_f32_u32 s16, s15
	s_add_co_i32 s17, s3, s17
	s_sub_co_i32 s19, 0, s15
	s_wait_alu 0xfffe
	s_and_b32 s17, s17, -4
	v_rcp_iflag_f32_e32 v1, s16
	s_wait_alu 0xfffe
	s_sub_co_i32 s17, s3, s17
	s_wait_alu 0xfffe
	s_mul_i32 s0, s17, s0
	s_wait_alu 0xfffe
	s_add_co_i32 s2, s0, s2
	s_delay_alu instid0(TRANS32_DEP_1) | instskip(SKIP_2) | instid1(SALU_CYCLE_2)
	v_readfirstlane_b32 s16, v1
	s_mul_f32 s16, s16, 0x4f7ffffe
	s_wait_alu 0xfffe
	s_cvt_u32_f32 s16, s16
	s_wait_alu 0xfffe
	s_delay_alu instid0(SALU_CYCLE_2)
	s_mul_i32 s19, s19, s16
	s_wait_alu 0xfffe
	s_mul_hi_u32 s0, s16, s19
	s_abs_i32 s19, s2
	s_wait_alu 0xfffe
	s_add_co_i32 s16, s16, s0
	s_wait_alu 0xfffe
	s_mul_hi_u32 s0, s19, s16
	s_xor_b32 s16, s2, s1
	s_wait_alu 0xfffe
	s_mul_i32 s22, s0, s15
	s_ashr_i32 s16, s16, 31
	s_wait_alu 0xfffe
	s_sub_co_i32 s19, s19, s22
	s_add_co_i32 s22, s0, 1
	s_wait_alu 0xfffe
	s_sub_co_i32 s24, s19, s15
	s_cmp_ge_u32 s19, s15
	s_cselect_b32 s0, s22, s0
	s_wait_alu 0xfffe
	s_cselect_b32 s19, s24, s19
	s_add_co_i32 s22, s0, 1
	s_wait_alu 0xfffe
	s_cmp_ge_u32 s19, s15
	s_cselect_b32 s0, s22, s0
	s_wait_alu 0xfffe
	s_xor_b32 s0, s0, s16
	s_wait_alu 0xfffe
	s_sub_co_i32 s0, s0, s16
	s_wait_alu 0xfffe
	s_mul_i32 s1, s0, s1
	s_wait_alu 0xfffe
	s_sub_co_i32 s1, s2, s1
	s_wait_alu 0xfffe
	s_add_co_i32 s1, s1, s3
	s_wait_alu 0xfffe
	s_sub_co_i32 s26, s1, s17
.LBB9_10:
	s_delay_alu instid0(SALU_CYCLE_1)
	s_mov_b32 s27, s26
	s_wait_alu 0xfffe
	s_mov_b32 s26, s0
.LBB9_11:
	v_and_b32_e32 v7, 7, v41
	s_mov_b64 s[0:1], src_shared_base
	s_add_co_i32 s0, s10, 63
	v_dual_mov_b32 v16, v0 :: v_dual_and_b32 v15, 0xf8, v41
	s_delay_alu instid0(VALU_DEP_2)
	v_dual_mov_b32 v3, v7 :: v_dual_lshlrev_b32 v6, 4, v7
	s_wait_alu 0xfffe
	s_ashr_i32 s2, s0, 31
	s_mov_b32 s28, s6
	s_wait_alu 0xfffe
	s_lshr_b32 s2, s2, 26
	s_mov_b32 s29, s6
	s_mov_b32 s30, s6
	;; [unrolled: 1-line block ×3, first 2 shown]
	v_dual_mov_b32 v11, s28 :: v_dual_mov_b32 v12, s29
	v_bfe_u32 v10, v41, 5, 2
	s_wait_alu 0xfffe
	s_add_co_i32 s0, s0, s2
	v_dual_mov_b32 v13, s30 :: v_dual_mov_b32 v14, s31
	v_lshl_or_b32 v1, s27, 8, v15
	v_lshl_or_b32 v2, v15, 7, v6
	s_wait_alu 0xfffe
	s_ashr_i32 s0, s0, 6
	s_lshl_b32 s10, s26, 2
	s_getpc_b64 s[2:3]
	s_wait_alu 0xfffe
	s_sext_i32_i16 s3, s3
	s_add_co_u32 s2, s2, __const._ZN2ck41GridwiseGemm_xdl_cshuffle_v3_b_preshuffleINS_13tensor_layout4gemm8RowMajorENS2_11ColumnMajorES3_NS_9f8_fnuz_tENS_7pk_i4_tEfDF16_DF16_NS_16tensor_operation12element_wise11PassThroughES9_S9_LNS7_6device18GemmSpecializationE0ELi256ELi256ELi256ELi128ELi16ELi32ELi16ELi16ELi8ELi4ENS_8SequenceIJLi8ELi32ELi1EEEENSC_IJLi1ELi0ELi2EEEESE_Li2ELi16ELi16ELb0ELi0ENSC_IJLi4ELi64ELi1EEEESE_SE_Li2ELi32ELi32ELb0ELi0ELi1ELi1ENSC_IJLi1ELi32ELi1ELi8EEEELi4ELNS_26BlockGemmPipelineSchedulerE0ELNS_24BlockGemmPipelineVersionE2ES5_S5_Lb0ELb0ELi0EE8Run_2LdsIKNS_16TensorDescriptorINS_5TupleIJNS_5EmbedINSM_IJiiEEENSM_IJiNS_17integral_constantIiLi1EEEEEELb0EEENS_7UnMergeISO_Lb0EEENS_11PassThroughIiEEEEENSM_IJNSC_IJLi0EEEENSC_IJLi2EEEENSC_IJLi1EEEEEEENSM_IJNSC_IJLi1ELi2EEEENSC_IJLi3ELi4EEEENSC_IJLi5EEEEEEENSC_IJLi3ELi5ELi4EEEElEEKNSL_INSM_IJNSN_INSM_IJiiiiEEENSM_IJiiiSQ_EEELb0EEEEEENSM_IJSY_EEENSM_IJNSC_IJLi1ELi2ELi3ELi4EEEEEEES1E_lEEKNSL_INSM_IJSS_NS_8RightPadIiiLb0EEES1J_NST_INSM_IJiNSP_IiLi256EEEEEELb0EEES1M_EEENSM_IJSY_S10_SZ_NSC_IJLi3EEEENSC_IJLi4EEEEEEENSM_IJS12_S1O_S1P_NSC_IJLi5ELi6EEEENSC_IJLi7ELi8EEEEEEENSC_IJLi5ELi6ELi7ELi8EEEElEELb1ELNS_25InMemoryDataOperationEnumE1ELNS_10TailNumberE1EEEvPKS5_PKS6_PDF16_PvS24_RKNSJ_7ProblemERKT_RKT0_RKT1_i.a_block_slice_copy_step@rel32@lo+12
	s_wait_alu 0xfffe
	s_add_co_ci_u32 s3, s3, __const._ZN2ck41GridwiseGemm_xdl_cshuffle_v3_b_preshuffleINS_13tensor_layout4gemm8RowMajorENS2_11ColumnMajorES3_NS_9f8_fnuz_tENS_7pk_i4_tEfDF16_DF16_NS_16tensor_operation12element_wise11PassThroughES9_S9_LNS7_6device18GemmSpecializationE0ELi256ELi256ELi256ELi128ELi16ELi32ELi16ELi16ELi8ELi4ENS_8SequenceIJLi8ELi32ELi1EEEENSC_IJLi1ELi0ELi2EEEESE_Li2ELi16ELi16ELb0ELi0ENSC_IJLi4ELi64ELi1EEEESE_SE_Li2ELi32ELi32ELb0ELi0ELi1ELi1ENSC_IJLi1ELi32ELi1ELi8EEEELi4ELNS_26BlockGemmPipelineSchedulerE0ELNS_24BlockGemmPipelineVersionE2ES5_S5_Lb0ELb0ELi0EE8Run_2LdsIKNS_16TensorDescriptorINS_5TupleIJNS_5EmbedINSM_IJiiEEENSM_IJiNS_17integral_constantIiLi1EEEEEELb0EEENS_7UnMergeISO_Lb0EEENS_11PassThroughIiEEEEENSM_IJNSC_IJLi0EEEENSC_IJLi2EEEENSC_IJLi1EEEEEEENSM_IJNSC_IJLi1ELi2EEEENSC_IJLi3ELi4EEEENSC_IJLi5EEEEEEENSC_IJLi3ELi5ELi4EEEElEEKNSL_INSM_IJNSN_INSM_IJiiiiEEENSM_IJiiiSQ_EEELb0EEEEEENSM_IJSY_EEENSM_IJNSC_IJLi1ELi2ELi3ELi4EEEEEEES1E_lEEKNSL_INSM_IJSS_NS_8RightPadIiiLb0EEES1J_NST_INSM_IJiNSP_IiLi256EEEEEELb0EEES1M_EEENSM_IJSY_S10_SZ_NSC_IJLi3EEEENSC_IJLi4EEEEEEENSM_IJS12_S1O_S1P_NSC_IJLi5ELi6EEEENSC_IJLi7ELi8EEEEEEENSC_IJLi5ELi6ELi7ELi8EEEElEELb1ELNS_25InMemoryDataOperationEnumE1ELNS_10TailNumberE1EEEvPKS5_PKS6_PDF16_PvS24_RKNSJ_7ProblemERKT_RKT0_RKT1_i.a_block_slice_copy_step@rel32@hi+24
	v_mul_lo_u32 v9, s14, v10
	s_getpc_b64 s[14:15]
	s_wait_alu 0xfffe
	s_sext_i32_i16 s15, s15
	s_add_co_u32 s14, s14, __const._ZN2ck41GridwiseGemm_xdl_cshuffle_v3_b_preshuffleINS_13tensor_layout4gemm8RowMajorENS2_11ColumnMajorES3_NS_9f8_fnuz_tENS_7pk_i4_tEfDF16_DF16_NS_16tensor_operation12element_wise11PassThroughES9_S9_LNS7_6device18GemmSpecializationE0ELi256ELi256ELi256ELi128ELi16ELi32ELi16ELi16ELi8ELi4ENS_8SequenceIJLi8ELi32ELi1EEEENSC_IJLi1ELi0ELi2EEEESE_Li2ELi16ELi16ELb0ELi0ENSC_IJLi4ELi64ELi1EEEESE_SE_Li2ELi32ELi32ELb0ELi0ELi1ELi1ENSC_IJLi1ELi32ELi1ELi8EEEELi4ELNS_26BlockGemmPipelineSchedulerE0ELNS_24BlockGemmPipelineVersionE2ES5_S5_Lb0ELb0ELi0EE8Run_2LdsIKNS_16TensorDescriptorINS_5TupleIJNS_5EmbedINSM_IJiiEEENSM_IJiNS_17integral_constantIiLi1EEEEEELb0EEENS_7UnMergeISO_Lb0EEENS_11PassThroughIiEEEEENSM_IJNSC_IJLi0EEEENSC_IJLi2EEEENSC_IJLi1EEEEEEENSM_IJNSC_IJLi1ELi2EEEENSC_IJLi3ELi4EEEENSC_IJLi5EEEEEEENSC_IJLi3ELi5ELi4EEEElEEKNSL_INSM_IJNSN_INSM_IJiiiiEEENSM_IJiiiSQ_EEELb0EEEEEENSM_IJSY_EEENSM_IJNSC_IJLi1ELi2ELi3ELi4EEEEEEES1E_lEEKNSL_INSM_IJSS_NS_8RightPadIiiLb0EEES1J_NST_INSM_IJiNSP_IiLi256EEEEEELb0EEES1M_EEENSM_IJSY_S10_SZ_NSC_IJLi3EEEENSC_IJLi4EEEEEEENSM_IJS12_S1O_S1P_NSC_IJLi5ELi6EEEENSC_IJLi7ELi8EEEEEEENSC_IJLi5ELi6ELi7ELi8EEEElEELb1ELNS_25InMemoryDataOperationEnumE1ELNS_10TailNumberE1EEEvPKS5_PKS6_PDF16_PvS24_RKNSJ_7ProblemERKT_RKT0_RKT1_i.b_block_slice_copy_step@rel32@lo+12
	s_wait_alu 0xfffe
	s_add_co_ci_u32 s15, s15, __const._ZN2ck41GridwiseGemm_xdl_cshuffle_v3_b_preshuffleINS_13tensor_layout4gemm8RowMajorENS2_11ColumnMajorES3_NS_9f8_fnuz_tENS_7pk_i4_tEfDF16_DF16_NS_16tensor_operation12element_wise11PassThroughES9_S9_LNS7_6device18GemmSpecializationE0ELi256ELi256ELi256ELi128ELi16ELi32ELi16ELi16ELi8ELi4ENS_8SequenceIJLi8ELi32ELi1EEEENSC_IJLi1ELi0ELi2EEEESE_Li2ELi16ELi16ELb0ELi0ENSC_IJLi4ELi64ELi1EEEESE_SE_Li2ELi32ELi32ELb0ELi0ELi1ELi1ENSC_IJLi1ELi32ELi1ELi8EEEELi4ELNS_26BlockGemmPipelineSchedulerE0ELNS_24BlockGemmPipelineVersionE2ES5_S5_Lb0ELb0ELi0EE8Run_2LdsIKNS_16TensorDescriptorINS_5TupleIJNS_5EmbedINSM_IJiiEEENSM_IJiNS_17integral_constantIiLi1EEEEEELb0EEENS_7UnMergeISO_Lb0EEENS_11PassThroughIiEEEEENSM_IJNSC_IJLi0EEEENSC_IJLi2EEEENSC_IJLi1EEEEEEENSM_IJNSC_IJLi1ELi2EEEENSC_IJLi3ELi4EEEENSC_IJLi5EEEEEEENSC_IJLi3ELi5ELi4EEEElEEKNSL_INSM_IJNSN_INSM_IJiiiiEEENSM_IJiiiSQ_EEELb0EEEEEENSM_IJSY_EEENSM_IJNSC_IJLi1ELi2ELi3ELi4EEEEEEES1E_lEEKNSL_INSM_IJSS_NS_8RightPadIiiLb0EEES1J_NST_INSM_IJiNSP_IiLi256EEEEEELb0EEES1M_EEENSM_IJSY_S10_SZ_NSC_IJLi3EEEENSC_IJLi4EEEEEEENSM_IJS12_S1O_S1P_NSC_IJLi5ELi6EEEENSC_IJLi7ELi8EEEEEEENSC_IJLi5ELi6ELi7ELi8EEEElEELb1ELNS_25InMemoryDataOperationEnumE1ELNS_10TailNumberE1EEEvPKS5_PKS6_PDF16_PvS24_RKNSJ_7ProblemERKT_RKT0_RKT1_i.b_block_slice_copy_step@rel32@hi+24
	s_clause 0x1f
	scratch_store_b128 off, v[11:14], off offset:160
	scratch_store_b128 off, v[11:14], off offset:144
	;; [unrolled: 1-line block ×8, first 2 shown]
	scratch_store_b16 off, v0, off offset:176
	scratch_store_b128 off, v[11:14], off offset:192
	scratch_store_b128 off, v[11:14], off offset:208
	;; [unrolled: 1-line block ×7, first 2 shown]
	scratch_store_b16 off, v0, off offset:320
	scratch_store_b128 off, v[11:14], off offset:304
	scratch_store_b128 off, v[11:14], off offset:448
	;; [unrolled: 1-line block ×9, first 2 shown]
	scratch_store_b8 off, v0, off offset:464
	scratch_store_b128 off, v[11:14], off offset:466
	scratch_store_b128 off, v[11:14], off offset:482
	scratch_store_b128 off, v[11:14], off offset:498
	scratch_store_b128 off, v[11:14], off offset:514
	scratch_store_b128 off, v[11:14], off offset:530
	s_clause 0xc
	scratch_store_b128 off, v[11:14], off offset:546
	scratch_store_b128 off, v[11:14], off offset:562
	;; [unrolled: 1-line block ×3, first 2 shown]
	scratch_store_b8 off, v0, off offset:594
	scratch_store_b128 off, v[11:14], off offset:720
	scratch_store_b128 off, v[11:14], off offset:704
	;; [unrolled: 1-line block ×9, first 2 shown]
	s_load_b64 s[2:3], s[2:3], 0x0
	s_load_b128 s[28:31], s[14:15], 0x0
	v_dual_mov_b32 v17, v15 :: v_dual_lshlrev_b32 v8, 5, v41
	v_mov_b32_e32 v2, s6
	v_mad_co_u64_u32 v[4:5], null, v1, s23, v[6:7]
	v_dual_mov_b32 v5, v1 :: v_dual_mov_b32 v18, v7
	s_delay_alu instid0(VALU_DEP_4)
	v_and_b32_e32 v19, 0x3e0, v8
	v_mov_b32_e32 v1, v7
	v_mov_b32_e32 v3, v15
	s_mul_i32 s0, s0, s13
	s_mul_i32 s11, s10, s11
	v_or_b32_e32 v8, v9, v19
	s_wait_alu 0xfffe
	s_lshl_b32 s13, s0, 10
	scratch_store_b128 off, v[0:3], off offset:800
	v_dual_mov_b32 v2, v15 :: v_dual_mov_b32 v3, s6
	s_wait_alu 0xfffe
	v_add3_u32 v8, s11, s13, v8
	v_mov_b32_e32 v9, s10
	v_mov_b32_e32 v11, s0
	s_clause 0x2
	scratch_store_b16 off, v0, off offset:736
	scratch_store_b128 off, v[4:7], off offset:752
	scratch_store_b128 off, v[0:3], off offset:816
	s_wait_kmcnt 0x0
	v_dual_mov_b32 v2, s28 :: v_dual_mov_b32 v1, s1
	v_dual_mov_b32 v3, s29 :: v_dual_mov_b32 v4, s30
	v_mov_b32_e32 v5, s31
	s_clause 0x2
	scratch_store_b128 off, v[15:18], off offset:784
	scratch_store_b128 off, v[8:11], off offset:848
	scratch_store_b32 off, v19, off offset:864
	v_dual_mov_b32 v8, 0x8000 :: v_dual_mov_b32 v9, s1
	s_mov_b32 s0, s6
	v_dual_mov_b32 v12, s3 :: v_dual_mov_b32 v11, s2
	s_clause 0x6
	scratch_store_b64 off, v[0:1], off offset:872
	scratch_store_b8 off, v0, off offset:881
	scratch_store_b64 off, v[8:9], off offset:888
	scratch_store_b8 off, v0, off offset:897
	scratch_store_b32 off, v0, off offset:912
	scratch_store_b64 off, v[11:12], off offset:904
	scratch_store_b128 off, v[2:5], off offset:916
.LBB9_12:                               ; =>This Inner Loop Header: Depth=1
	s_wait_alu 0xfffe
	s_add_co_i32 s1, s0, 0x3c0
	s_add_co_i32 s0, s0, 1
	scratch_store_b8 off, v0, s1
	s_wait_alu 0xfffe
	s_cmp_lt_u32 s0, 0x4e0
	s_cbranch_scc1 .LBB9_12
; %bb.13:
	v_lshrrev_b32_e32 v42, 7, v41
	v_and_b32_e32 v43, 15, v41
	s_lshl_b64 s[2:3], s[8:9], 1
	s_mov_b32 s19, 0
	v_bfe_u32 v12, v41, 4, 1
	s_wait_alu 0xfffe
	s_add_nc_u64 s[24:25], s[4:5], s[2:3]
	v_lshl_or_b32 v6, v42, 4, v43
	v_lshlrev_b32_e32 v0, 2, v41
	s_mul_u64 s[22:23], s[6:7], s[18:19]
	s_mov_b32 s4, s19
	s_mov_b32 s5, s19
	s_mov_b32 s6, s19
	v_and_b32_e32 v11, 64, v0
	s_mov_b32 s7, s19
	v_lshlrev_b32_e32 v1, 7, v6
	v_dual_mov_b32 v0, v10 :: v_dual_lshlrev_b32 v9, 1, v12
	s_delay_alu instid0(VALU_DEP_3) | instskip(SKIP_2) | instid1(VALU_DEP_3)
	v_lshrrev_b32_e32 v8, 4, v11
	v_lshl_or_b32 v10, v10, 4, v43
	s_mov_b64 s[0:1], src_private_base
	v_xor_b32_e32 v3, v9, v7
	s_ashr_i32 s0, s12, 31
	v_xor_b32_e32 v5, v8, v7
	v_mov_b32_e32 v7, v6
	s_wait_alu 0xfffe
	s_lshr_b32 s0, s0, 29
	v_lshl_or_b32 v2, v3, 4, v1
	s_wait_alu 0xfffe
	s_add_co_i32 s12, s12, s0
	v_lshl_or_b32 v4, v5, 4, v1
	v_mov_b32_e32 v1, v43
	s_wait_alu 0xfffe
	s_ashr_i32 s0, s12, 3
	v_dual_mov_b32 v13, s1 :: v_dual_mov_b32 v20, 0x8a0
	scratch_store_b96 off, v[4:6], off offset:1984
	v_dual_mov_b32 v5, v8 :: v_dual_lshlrev_b32 v4, 5, v12
	s_clause 0x4
	scratch_store_b64 off, v[7:8], off offset:2000
	scratch_store_b32 off, v8, off offset:2012
	scratch_store_b32 off, v6, off offset:2020
	scratch_store_b64 off, v[5:6], off offset:2028
	scratch_store_b32 off, v11, off offset:2040
	v_mov_b32_e32 v8, v6
	v_lshrrev_b32_e32 v45, 1, v11
	v_dual_mov_b32 v7, s1 :: v_dual_mov_b32 v14, 0x350
	s_wait_alu 0xfffe
	v_dual_mov_b32 v15, s1 :: v_dual_mov_b32 v22, s0
	s_delay_alu instid0(VALU_DEP_3)
	v_add_lshl_u32 v44, v10, v45, 6
	s_clause 0x4
	scratch_store_b128 off, v[42:45], off offset:2048
	scratch_store_b32 off, v10, off offset:2064
	scratch_store_b32 off, v11, off offset:2076
	scratch_store_b128 off, v[0:3], off offset:2084
	scratch_store_b32 off, v6, off offset:2100
	v_dual_mov_b32 v0, s4 :: v_dual_mov_b32 v1, s5
	v_dual_mov_b32 v2, s6 :: v_dual_mov_b32 v3, s7
	v_mov_b32_e32 v5, v9
	s_clause 0x3
	scratch_store_b64 off, v[8:9], off offset:2108
	scratch_store_b32 off, v9, off offset:2120
	scratch_store_b32 off, v6, off offset:2128
	scratch_store_b64 off, v[5:6], off offset:2136
	v_dual_mov_b32 v5, s1 :: v_dual_mov_b32 v6, 0
	s_clause 0x1f
	scratch_store_b32 off, v4, off offset:2148
	scratch_store_b64 off, v[42:43], off offset:2156
	scratch_store_b64 off, v[42:43], off offset:2168
	scratch_store_b32 off, v12, off offset:2180
	scratch_store_b128 off, v[0:3], off offset:3216
	scratch_store_b128 off, v[0:3], off offset:3200
	;; [unrolled: 1-line block ×28, first 2 shown]
	s_clause 0x1d
	scratch_store_b128 off, v[0:3], off offset:2768
	scratch_store_b128 off, v[0:3], off offset:2752
	;; [unrolled: 1-line block ×30, first 2 shown]
	v_mov_b32_e32 v4, 48
	s_clause 0x5
	scratch_store_b128 off, v[0:3], off offset:2288
	scratch_store_b128 off, v[0:3], off offset:2272
	;; [unrolled: 1-line block ×6, first 2 shown]
	v_dual_mov_b32 v0, 0x3c0 :: v_dual_mov_b32 v1, s1
	v_mov_b32_e32 v8, 0x368
	v_dual_mov_b32 v2, 0xca0 :: v_dual_mov_b32 v3, s1
	v_dual_mov_b32 v10, 0x388 :: v_dual_mov_b32 v9, s1
	;; [unrolled: 1-line block ×3, first 2 shown]
	v_mov_b32_e32 v18, 0x394
	v_dual_mov_b32 v12, 0xcd0 :: v_dual_mov_b32 v17, s1
	v_mov_b32_e32 v19, s1
	v_mov_b32_e32 v21, s1
	s_getpc_b64 s[2:3]
	s_wait_alu 0xfffe
	s_sext_i32_i16 s3, s3
	s_add_co_u32 s2, s2, _ZNK2ck52BlockwiseGemmXdlops_pipeline_bpreshuffle_bdequant_v3ILNS_26BlockGemmPipelineSchedulerE0ELi256ENS_9f8_fnuz_tENS_7pk_i4_tES2_fNS_16TensorDescriptorINS_5TupleIJNS_5EmbedINS5_IJNS_17integral_constantIiLi8EEENS7_IiLi256EEENS7_IiLi16EEEEEENS5_IJSA_NS7_IiLi128EEENS7_IiLi1EEEEEELb0EEENS_3XorINS5_IJS9_S8_EEELb1EEENS_11PassThroughISA_EENS_7UnMergeINS5_IJS8_SD_EEELb0EEENSJ_IS9_EESK_NSJ_IS8_EENS_21Merge_v3_division_modINS5_IJS9_SD_EEEEESK_EEENS5_IJNS_8SequenceIJLi0EEEENSU_IJLi2ELi1EEEENSU_IJLi3EEEENSU_IJLi5EEEENSU_IJLi4EEEENSU_IJLi6EEEENSU_IJLi7EEEENSU_IJLi9ELi8EEEENSU_IJLi10EEEEEEENS5_IJNSU_IJLi1ELi2ELi3EEEENSU_IJLi4ELi5EEEES10_NSU_IJLi7ELi8EEEENSU_IJLi9EEEES13_NSU_IJLi11EEEENSU_IJLi12EEEENSU_IJLi13EEEEEEENSU_IJLi11ELi12ELi13EEEENS7_IlLl32768EEEEENS4_INS5_IJNSL_INS5_IJNS7_IiLi4EEESD_NS7_IiLi2EEENS7_IiLi32EEEEEELb0EEEEEENS5_IJSV_EEENS5_IJNSU_IJLi1ELi2ELi3ELi4EEEEEEES1N_NS7_IlLl256EEEEENS4_INS5_IJSF_SI_SK_SN_SO_SK_SP_SS_SK_NSQ_INS5_IJS8_SA_EEEEENSL_INS5_IJS8_S1H_SA_EEELb0EEEEEENS5_IJSV_SW_SX_SY_SZ_S10_S11_S12_S13_NSU_IJLi11ELi13EEEES1A_EEENS5_IJS15_S16_S10_S17_S18_S13_S19_S1A_S1B_NSU_IJLi14EEEENSU_IJLi15ELi16ELi17EEEEEEENSU_IJLi15ELi16ELi17ELi14EEEES1E_EENS4_INS5_IJS1K_NSQ_INS5_IJS1G_S1H_EEEEENSL_INS5_IJS1G_S1G_SA_EEELb0EEEEEENS5_IJSV_NSU_IJLi1ELi3EEEENSU_IJLi2EEEEEEENS5_IJS1N_SY_NSU_IJLi6ELi7ELi8EEEEEEENSU_IJLi6ELi7ELi8ELi5EEEES1P_EELi16ELi32ELi256ELi256ELi128ELi16ELi16ELi8ELi4ELi32ELb0EE3RunILb1ELNS_10TailNumberE1ENS4_INS5_IJNS6_INS5_IJiiEEENS5_IJiSD_EEELb0EEENSL_IS2I_Lb0EEENSJ_IiEEEEENS5_IJSV_S29_NSU_IJLi1EEEEEEENS5_IJNSU_IJLi1ELi2EEEENSU_IJLi3ELi4EEEESY_EEENSU_IJLi3ELi5ELi4EEEElEES1F_NS_35ThreadGroupTensorSliceTransfer_v4r1INS_15ThisThreadBlockILi256EEENS_16tensor_operation12element_wise11PassThroughES30_LNS_25InMemoryDataOperationEnumE0ENSU_IJLi8ELi256ELi16EEEENSU_IJLi8ELi32ELi1EEEENSU_IJLi1ELi0ELi2EEEES2_S2_RKS2U_KS1F_S34_NSU_IJLi0ELi1ELi2EEEELi2ELi2ELi16ELi16ELi1ELi1ELb0ELb1ELi2EiEENS_13DynamicBufferILNS_16AddressSpaceEnumE1EKS2_lLb1ELNS_22AmdBufferCoherenceEnumE0EiEENS5_IJNS3A_ILS3B_2ES2_S1E_Lb1ELS3D_0EiEES3F_EEENS5_IJiiiEEENS4_INS5_IJNS6_INS5_IJiiiiEEENS5_IJiiiSD_EEELb0EEEEEES1M_S1O_S1N_lEENS_32ThreadwiseTensorSliceTransfer_v2IS3_S3_RKS3M_KS1Q_NSU_IJLi4ELi1ELi2ELi32EEEENSU_IJLi1ELi2ELi0ELi3EEEELi3ELi32ELi0ELb1ELb0ELb0EEENS3A_ILS3B_1EKS3_lLb1ELS3D_0EiEENS5_IJNS_12StaticBufferILS3B_4ES3_Li256ELb1EEES3X_EEES3I_NS_25StaticBufferTupleOfVectorILS3B_4EfLi32ELi8ELb1ELb0EEEEEvRKT1_RKT2_RT3_RKT4_RT5_RKT6_RKT7_RT8_RKT9_RT10_RKT11_RT12_i@rel32@lo+12
	s_wait_alu 0xfffe
	s_add_co_ci_u32 s3, s3, _ZNK2ck52BlockwiseGemmXdlops_pipeline_bpreshuffle_bdequant_v3ILNS_26BlockGemmPipelineSchedulerE0ELi256ENS_9f8_fnuz_tENS_7pk_i4_tES2_fNS_16TensorDescriptorINS_5TupleIJNS_5EmbedINS5_IJNS_17integral_constantIiLi8EEENS7_IiLi256EEENS7_IiLi16EEEEEENS5_IJSA_NS7_IiLi128EEENS7_IiLi1EEEEEELb0EEENS_3XorINS5_IJS9_S8_EEELb1EEENS_11PassThroughISA_EENS_7UnMergeINS5_IJS8_SD_EEELb0EEENSJ_IS9_EESK_NSJ_IS8_EENS_21Merge_v3_division_modINS5_IJS9_SD_EEEEESK_EEENS5_IJNS_8SequenceIJLi0EEEENSU_IJLi2ELi1EEEENSU_IJLi3EEEENSU_IJLi5EEEENSU_IJLi4EEEENSU_IJLi6EEEENSU_IJLi7EEEENSU_IJLi9ELi8EEEENSU_IJLi10EEEEEEENS5_IJNSU_IJLi1ELi2ELi3EEEENSU_IJLi4ELi5EEEES10_NSU_IJLi7ELi8EEEENSU_IJLi9EEEES13_NSU_IJLi11EEEENSU_IJLi12EEEENSU_IJLi13EEEEEEENSU_IJLi11ELi12ELi13EEEENS7_IlLl32768EEEEENS4_INS5_IJNSL_INS5_IJNS7_IiLi4EEESD_NS7_IiLi2EEENS7_IiLi32EEEEEELb0EEEEEENS5_IJSV_EEENS5_IJNSU_IJLi1ELi2ELi3ELi4EEEEEEES1N_NS7_IlLl256EEEEENS4_INS5_IJSF_SI_SK_SN_SO_SK_SP_SS_SK_NSQ_INS5_IJS8_SA_EEEEENSL_INS5_IJS8_S1H_SA_EEELb0EEEEEENS5_IJSV_SW_SX_SY_SZ_S10_S11_S12_S13_NSU_IJLi11ELi13EEEES1A_EEENS5_IJS15_S16_S10_S17_S18_S13_S19_S1A_S1B_NSU_IJLi14EEEENSU_IJLi15ELi16ELi17EEEEEEENSU_IJLi15ELi16ELi17ELi14EEEES1E_EENS4_INS5_IJS1K_NSQ_INS5_IJS1G_S1H_EEEEENSL_INS5_IJS1G_S1G_SA_EEELb0EEEEEENS5_IJSV_NSU_IJLi1ELi3EEEENSU_IJLi2EEEEEEENS5_IJS1N_SY_NSU_IJLi6ELi7ELi8EEEEEEENSU_IJLi6ELi7ELi8ELi5EEEES1P_EELi16ELi32ELi256ELi256ELi128ELi16ELi16ELi8ELi4ELi32ELb0EE3RunILb1ELNS_10TailNumberE1ENS4_INS5_IJNS6_INS5_IJiiEEENS5_IJiSD_EEELb0EEENSL_IS2I_Lb0EEENSJ_IiEEEEENS5_IJSV_S29_NSU_IJLi1EEEEEEENS5_IJNSU_IJLi1ELi2EEEENSU_IJLi3ELi4EEEESY_EEENSU_IJLi3ELi5ELi4EEEElEES1F_NS_35ThreadGroupTensorSliceTransfer_v4r1INS_15ThisThreadBlockILi256EEENS_16tensor_operation12element_wise11PassThroughES30_LNS_25InMemoryDataOperationEnumE0ENSU_IJLi8ELi256ELi16EEEENSU_IJLi8ELi32ELi1EEEENSU_IJLi1ELi0ELi2EEEES2_S2_RKS2U_KS1F_S34_NSU_IJLi0ELi1ELi2EEEELi2ELi2ELi16ELi16ELi1ELi1ELb0ELb1ELi2EiEENS_13DynamicBufferILNS_16AddressSpaceEnumE1EKS2_lLb1ELNS_22AmdBufferCoherenceEnumE0EiEENS5_IJNS3A_ILS3B_2ES2_S1E_Lb1ELS3D_0EiEES3F_EEENS5_IJiiiEEENS4_INS5_IJNS6_INS5_IJiiiiEEENS5_IJiiiSD_EEELb0EEEEEES1M_S1O_S1N_lEENS_32ThreadwiseTensorSliceTransfer_v2IS3_S3_RKS3M_KS1Q_NSU_IJLi4ELi1ELi2ELi32EEEENSU_IJLi1ELi2ELi0ELi3EEEELi3ELi32ELi0ELb1ELb0ELb0EEENS3A_ILS3B_1EKS3_lLb1ELS3D_0EiEENS5_IJNS_12StaticBufferILS3B_4ES3_Li256ELb1EEES3X_EEES3I_NS_25StaticBufferTupleOfVectorILS3B_4EfLi32ELi8ELb1ELb0EEEEEvRKT1_RKT2_RT3_RKT4_RT5_RKT6_RKT7_RT8_RKT9_RT10_RKT11_RT12_i@rel32@hi+24
	s_mov_b32 s17, 4
	s_wait_alu 0xfffe
	s_swappc_b64 s[30:31], s[2:3]
	s_wait_dscnt 0x0
	s_barrier_signal -1
	s_barrier_wait -1
	s_clause 0x1
	scratch_load_b128 v[3:6], off, off offset:2208
	scratch_load_b128 v[7:10], off, off offset:2224
	v_lshrrev_b32_e32 v0, 1, v41
	v_lshrrev_b32_e32 v1, 3, v41
	v_lshlrev_b32_e32 v2, 3, v41
	v_and_b32_e32 v12, 0x60, v41
	v_lshlrev_b32_e32 v13, 1, v43
	v_and_b32_e32 v0, 8, v0
	s_lshl_b32 s9, s18, 5
	v_and_b32_e32 v11, 56, v2
	v_lshl_or_b32 v2, s27, 8, v1
	s_mov_b32 s27, 0x31004000
	v_and_or_b32 v0, v1, 16, v0
	s_delay_alu instid0(VALU_DEP_3) | instskip(SKIP_2) | instid1(VALU_DEP_4)
	v_lshlrev_b32_e32 v14, 1, v11
	v_lshl_or_b32 v11, s26, 8, v11
	v_cmp_gt_i32_e64 s7, s20, v2
	v_lshlrev_b32_e32 v15, 7, v0
	v_or_b32_e32 v22, 0x60, v2
	v_lshl_or_b32 v0, v1, 7, v14
	v_cmp_gt_i32_e32 vcc_lo, s21, v11
	s_delay_alu instid0(VALU_DEP_4)
	v_or3_b32 v1, v12, v15, v13
	v_mad_co_u64_u32 v[15:16], null, v2, s18, v[11:12]
	s_and_b32 s0, s7, vcc_lo
	v_or_b32_e32 v13, 64, v11
	v_or_b32_e32 v16, 64, v2
	v_lshlrev_b32_e32 v12, 1, v15
	s_wait_loadcnt 0x1
	v_cvt_f16_f32_e32 v3, v3
	v_cvt_f16_f32_e32 v4, v4
	;; [unrolled: 1-line block ×4, first 2 shown]
	s_wait_loadcnt 0x0
	v_cvt_f16_f32_e32 v7, v7
	v_cvt_f16_f32_e32 v8, v8
	;; [unrolled: 1-line block ×4, first 2 shown]
	ds_store_b16 v1, v3
	ds_store_b16 v1, v4 offset:128
	ds_store_b16 v1, v5 offset:256
	;; [unrolled: 1-line block ×7, first 2 shown]
	s_wait_dscnt 0x0
	s_barrier_signal -1
	s_barrier_wait -1
	ds_load_b64 v[3:4], v0
	s_wait_alu 0xfffe
	v_cndmask_b32_e64 v5, 0x80000000, 0, s0
	s_add_co_i32 s0, s21, s23
	v_or_b32_e32 v6, 4, v11
	s_wait_alu 0xfffe
	s_lshl_b32 s26, s0, 1
	v_add_nc_u32_e32 v5, v5, v12
	s_wait_dscnt 0x0
	s_clause 0x1
	buffer_atomic_pk_add_f16 v3, v5, s[24:27], null offen
	buffer_atomic_pk_add_f16 v4, v5, s[24:27], s17 offen
	ds_load_b64 v[3:4], v0 offset:8
	v_cmp_gt_i32_e64 s0, s21, v6
	s_and_b32 s1, s7, s0
	s_wait_alu 0xfffe
	v_cndmask_b32_e64 v5, 0x80000000, 0, s1
	v_cmp_gt_i32_e64 s1, s21, v13
	v_or_b32_e32 v13, 0x80, v11
	s_delay_alu instid0(VALU_DEP_3)
	v_add_nc_u32_e32 v5, v12, v5
	s_wait_dscnt 0x0
	s_clause 0x1
	buffer_atomic_pk_add_f16 v3, v5, s[24:27], null offen offset:8
	buffer_atomic_pk_add_f16 v4, v5, s[24:27], s17 offen offset:8
	s_wait_dscnt 0x0
	s_barrier_signal -1
	s_barrier_wait -1
	s_clause 0x1
	scratch_load_b128 v[3:6], off, off offset:2240
	scratch_load_b128 v[7:10], off, off offset:2256
	s_and_b32 s2, s7, s1
	s_wait_loadcnt 0x1
	v_cvt_f16_f32_e32 v3, v3
	v_cvt_f16_f32_e32 v4, v4
	;; [unrolled: 1-line block ×4, first 2 shown]
	s_wait_loadcnt 0x0
	v_cvt_f16_f32_e32 v7, v7
	v_cvt_f16_f32_e32 v8, v8
	;; [unrolled: 1-line block ×4, first 2 shown]
	ds_store_b16 v1, v3
	ds_store_b16 v1, v4 offset:128
	ds_store_b16 v1, v5 offset:256
	;; [unrolled: 1-line block ×7, first 2 shown]
	s_wait_dscnt 0x0
	s_barrier_signal -1
	s_barrier_wait -1
	ds_load_b64 v[3:4], v0
	s_wait_alu 0xfffe
	v_cndmask_b32_e64 v5, 0x80000000, 0, s2
	v_or_b32_e32 v6, 0x44, v11
	s_delay_alu instid0(VALU_DEP_2)
	v_add_nc_u32_e32 v5, v12, v5
	s_wait_dscnt 0x0
	s_clause 0x1
	buffer_atomic_pk_add_f16 v3, v5, s[24:27], null offen offset:128
	buffer_atomic_pk_add_f16 v4, v5, s[24:27], s17 offen offset:128
	ds_load_b64 v[3:4], v0 offset:8
	v_cmp_gt_i32_e64 s2, s21, v6
	s_and_b32 s3, s7, s2
	s_wait_alu 0xfffe
	v_cndmask_b32_e64 v5, 0x80000000, 0, s3
	v_cmp_gt_i32_e64 s3, s21, v13
	v_or_b32_e32 v13, 0xc0, v11
	s_delay_alu instid0(VALU_DEP_3)
	v_add_nc_u32_e32 v5, v12, v5
	s_wait_dscnt 0x0
	s_clause 0x1
	buffer_atomic_pk_add_f16 v3, v5, s[24:27], null offen offset:136
	buffer_atomic_pk_add_f16 v4, v5, s[24:27], s17 offen offset:136
	s_wait_dscnt 0x0
	s_barrier_signal -1
	s_barrier_wait -1
	s_clause 0x1
	scratch_load_b128 v[3:6], off, off offset:2272
	scratch_load_b128 v[7:10], off, off offset:2288
	s_and_b32 s4, s7, s3
	s_wait_loadcnt 0x1
	v_cvt_f16_f32_e32 v3, v3
	v_cvt_f16_f32_e32 v4, v4
	;; [unrolled: 1-line block ×4, first 2 shown]
	s_wait_loadcnt 0x0
	v_cvt_f16_f32_e32 v7, v7
	v_cvt_f16_f32_e32 v8, v8
	;; [unrolled: 1-line block ×4, first 2 shown]
	ds_store_b16 v1, v3
	ds_store_b16 v1, v4 offset:128
	ds_store_b16 v1, v5 offset:256
	ds_store_b16 v1, v6 offset:384
	ds_store_b16 v1, v7 offset:512
	ds_store_b16 v1, v8 offset:640
	ds_store_b16 v1, v9 offset:768
	ds_store_b16 v1, v10 offset:896
	s_wait_dscnt 0x0
	s_barrier_signal -1
	s_barrier_wait -1
	ds_load_b64 v[3:4], v0
	s_wait_alu 0xfffe
	v_cndmask_b32_e64 v5, 0x80000000, 0, s4
	v_or_b32_e32 v6, 0x84, v11
	s_delay_alu instid0(VALU_DEP_2)
	v_add_nc_u32_e32 v5, v12, v5
	s_wait_dscnt 0x0
	s_clause 0x1
	buffer_atomic_pk_add_f16 v3, v5, s[24:27], null offen offset:256
	buffer_atomic_pk_add_f16 v4, v5, s[24:27], s17 offen offset:256
	ds_load_b64 v[3:4], v0 offset:8
	v_cmp_gt_i32_e64 s4, s21, v6
	s_and_b32 s5, s7, s4
	s_wait_alu 0xfffe
	v_cndmask_b32_e64 v5, 0x80000000, 0, s5
	v_cmp_gt_i32_e64 s5, s21, v13
	v_add_nc_u32_e32 v13, 0xc0, v15
	v_add_nc_u32_e32 v15, s9, v15
	s_delay_alu instid0(VALU_DEP_4)
	v_add_nc_u32_e32 v5, v12, v5
	s_wait_dscnt 0x0
	s_clause 0x1
	buffer_atomic_pk_add_f16 v3, v5, s[24:27], null offen offset:264
	buffer_atomic_pk_add_f16 v4, v5, s[24:27], s17 offen offset:264
	s_wait_dscnt 0x0
	s_barrier_signal -1
	s_barrier_wait -1
	s_clause 0x1
	scratch_load_b128 v[3:6], off, off offset:2304
	scratch_load_b128 v[7:10], off, off offset:2320
	s_and_b32 s6, s7, s5
	v_add_nc_u32_e32 v20, s9, v15
	s_delay_alu instid0(VALU_DEP_1)
	v_lshlrev_b32_e32 v19, 1, v20
	v_add_nc_u32_e32 v21, 0xc0, v20
	v_add_nc_u32_e32 v20, s9, v20
	s_wait_loadcnt 0x1
	v_cvt_f16_f32_e32 v3, v3
	v_cvt_f16_f32_e32 v4, v4
	;; [unrolled: 1-line block ×4, first 2 shown]
	s_wait_loadcnt 0x0
	v_cvt_f16_f32_e32 v7, v7
	v_cvt_f16_f32_e32 v8, v8
	;; [unrolled: 1-line block ×4, first 2 shown]
	ds_store_b16 v1, v3
	ds_store_b16 v1, v4 offset:128
	ds_store_b16 v1, v5 offset:256
	;; [unrolled: 1-line block ×7, first 2 shown]
	s_wait_dscnt 0x0
	s_barrier_signal -1
	s_barrier_wait -1
	ds_load_b64 v[3:4], v0
	s_wait_alu 0xfffe
	v_cndmask_b32_e64 v5, 0x80000000, 0, s6
	v_or_b32_e32 v6, 0xc4, v11
	v_or_b32_e32 v11, 32, v2
	s_delay_alu instid0(VALU_DEP_3)
	v_lshl_add_u32 v5, v13, 1, v5
	s_wait_dscnt 0x0
	s_clause 0x1
	buffer_atomic_pk_add_f16 v3, v5, s[24:27], null offen
	buffer_atomic_pk_add_f16 v4, v5, s[24:27], s17 offen
	ds_load_b64 v[3:4], v0 offset:8
	v_cmp_gt_i32_e64 s6, s21, v6
	v_add_lshl_u32 v13, v13, s9, 1
	s_and_b32 s7, s7, s6
	s_wait_alu 0xfffe
	v_cndmask_b32_e64 v5, 0x80000000, 0, s7
	v_cmp_gt_i32_e64 s7, s20, v11
	s_delay_alu instid0(VALU_DEP_2)
	v_add_nc_u32_e32 v5, v12, v5
	s_wait_dscnt 0x0
	s_clause 0x1
	buffer_atomic_pk_add_f16 v3, v5, s[24:27], null offen offset:392
	buffer_atomic_pk_add_f16 v4, v5, s[24:27], s17 offen offset:392
	s_wait_dscnt 0x0
	s_barrier_signal -1
	s_barrier_wait -1
	s_clause 0x1
	scratch_load_b128 v[3:6], off, off offset:2432
	scratch_load_b128 v[7:10], off, off offset:2448
	s_and_b32 s8, s7, s5
	s_wait_loadcnt 0x1
	v_cvt_f16_f32_e32 v3, v3
	v_cvt_f16_f32_e32 v4, v4
	;; [unrolled: 1-line block ×4, first 2 shown]
	s_wait_loadcnt 0x0
	v_cvt_f16_f32_e32 v7, v7
	v_cvt_f16_f32_e32 v8, v8
	;; [unrolled: 1-line block ×4, first 2 shown]
	ds_store_b16 v1, v3
	ds_store_b16 v1, v4 offset:128
	ds_store_b16 v1, v5 offset:256
	ds_store_b16 v1, v6 offset:384
	ds_store_b16 v1, v7 offset:512
	ds_store_b16 v1, v8 offset:640
	ds_store_b16 v1, v9 offset:768
	ds_store_b16 v1, v10 offset:896
	s_wait_dscnt 0x0
	s_barrier_signal -1
	s_barrier_wait -1
	ds_load_b64 v[3:4], v0
	s_wait_alu 0xfffe
	v_cndmask_b32_e64 v5, 0x80000000, 0, s8
	s_and_b32 s8, s7, s6
	s_delay_alu instid0(VALU_DEP_1)
	v_add_nc_u32_e32 v5, v13, v5
	s_wait_dscnt 0x0
	s_clause 0x1
	buffer_atomic_pk_add_f16 v3, v5, s[24:27], null offen
	buffer_atomic_pk_add_f16 v4, v5, s[24:27], s17 offen
	ds_load_b64 v[3:4], v0 offset:8
	v_cndmask_b32_e64 v5, 0x80000008, 8, s8
	s_and_b32 s8, s7, s3
	s_delay_alu instid0(VALU_DEP_1)
	v_add_nc_u32_e32 v5, v13, v5
	s_wait_dscnt 0x0
	s_clause 0x1
	buffer_atomic_pk_add_f16 v3, v5, s[24:27], null offen
	buffer_atomic_pk_add_f16 v4, v5, s[24:27], s17 offen
	s_wait_dscnt 0x0
	s_barrier_signal -1
	s_barrier_wait -1
	s_clause 0x1
	scratch_load_b128 v[3:6], off, off offset:2400
	scratch_load_b128 v[7:10], off, off offset:2416
	s_wait_loadcnt 0x1
	v_cvt_f16_f32_e32 v3, v3
	v_cvt_f16_f32_e32 v4, v4
	;; [unrolled: 1-line block ×4, first 2 shown]
	s_wait_loadcnt 0x0
	v_cvt_f16_f32_e32 v7, v7
	v_cvt_f16_f32_e32 v8, v8
	;; [unrolled: 1-line block ×4, first 2 shown]
	ds_store_b16 v1, v3
	ds_store_b16 v1, v4 offset:128
	ds_store_b16 v1, v5 offset:256
	;; [unrolled: 1-line block ×7, first 2 shown]
	s_wait_dscnt 0x0
	s_barrier_signal -1
	s_barrier_wait -1
	ds_load_b64 v[4:5], v0
	v_mov_b32_e32 v3, 0xffffff80
	s_delay_alu instid0(VALU_DEP_1) | instskip(SKIP_1) | instid1(VALU_DEP_1)
	v_cndmask_b32_e64 v6, 0x7fffff80, v3, s8
	s_and_b32 s8, s7, s4
	v_add_nc_u32_e32 v6, v13, v6
	s_wait_dscnt 0x0
	s_clause 0x1
	buffer_atomic_pk_add_f16 v4, v6, s[24:27], null offen
	buffer_atomic_pk_add_f16 v5, v6, s[24:27], s17 offen
	ds_load_b64 v[5:6], v0 offset:8
	v_mov_b32_e32 v4, 0xffffff88
	s_delay_alu instid0(VALU_DEP_1) | instskip(SKIP_1) | instid1(VALU_DEP_1)
	v_cndmask_b32_e64 v7, 0x7fffff88, v4, s8
	s_and_b32 s8, s7, s1
	v_add_nc_u32_e32 v7, v13, v7
	s_wait_dscnt 0x0
	s_clause 0x1
	buffer_atomic_pk_add_f16 v5, v7, s[24:27], null offen
	buffer_atomic_pk_add_f16 v6, v7, s[24:27], s17 offen
	s_wait_dscnt 0x0
	s_barrier_signal -1
	s_barrier_wait -1
	s_clause 0x1
	scratch_load_b128 v[5:8], off, off offset:2368
	scratch_load_b128 v[9:12], off, off offset:2384
	s_wait_loadcnt 0x1
	v_cvt_f16_f32_e32 v5, v5
	v_cvt_f16_f32_e32 v6, v6
	;; [unrolled: 1-line block ×4, first 2 shown]
	s_wait_loadcnt 0x0
	v_cvt_f16_f32_e32 v9, v9
	v_cvt_f16_f32_e32 v10, v10
	;; [unrolled: 1-line block ×4, first 2 shown]
	ds_store_b16 v1, v5
	ds_store_b16 v1, v6 offset:128
	ds_store_b16 v1, v7 offset:256
	;; [unrolled: 1-line block ×7, first 2 shown]
	s_wait_dscnt 0x0
	s_barrier_signal -1
	s_barrier_wait -1
	ds_load_b64 v[6:7], v0
	v_mov_b32_e32 v5, 0xffffff00
	s_delay_alu instid0(VALU_DEP_1) | instskip(SKIP_1) | instid1(VALU_DEP_1)
	v_cndmask_b32_e64 v8, 0x7fffff00, v5, s8
	s_and_b32 s8, s7, s2
	v_add_nc_u32_e32 v8, v13, v8
	s_wait_dscnt 0x0
	s_clause 0x1
	buffer_atomic_pk_add_f16 v6, v8, s[24:27], null offen
	buffer_atomic_pk_add_f16 v7, v8, s[24:27], s17 offen
	ds_load_b64 v[7:8], v0 offset:8
	v_mov_b32_e32 v6, 0xffffff08
	s_delay_alu instid0(VALU_DEP_1) | instskip(SKIP_2) | instid1(VALU_DEP_1)
	v_cndmask_b32_e64 v9, 0x7fffff08, v6, s8
	s_and_b32 s8, vcc_lo, s7
	s_and_b32 s7, s7, s0
	v_add_nc_u32_e32 v9, v13, v9
	s_wait_dscnt 0x0
	s_clause 0x1
	buffer_atomic_pk_add_f16 v7, v9, s[24:27], null offen
	buffer_atomic_pk_add_f16 v8, v9, s[24:27], s17 offen
	s_wait_dscnt 0x0
	s_barrier_signal -1
	s_barrier_wait -1
	s_clause 0x1
	scratch_load_b128 v[7:10], off, off offset:2336
	scratch_load_b128 v[11:14], off, off offset:2352
	s_wait_loadcnt 0x1
	v_cvt_f16_f32_e32 v7, v7
	v_cvt_f16_f32_e32 v8, v8
	;; [unrolled: 1-line block ×4, first 2 shown]
	s_wait_loadcnt 0x0
	v_cvt_f16_f32_e32 v11, v11
	v_cvt_f16_f32_e32 v12, v12
	;; [unrolled: 1-line block ×4, first 2 shown]
	ds_store_b16 v1, v7
	ds_store_b16 v1, v8 offset:128
	ds_store_b16 v1, v9 offset:256
	;; [unrolled: 1-line block ×7, first 2 shown]
	s_wait_dscnt 0x0
	s_barrier_signal -1
	s_barrier_wait -1
	ds_load_b64 v[7:8], v0
	v_cndmask_b32_e64 v9, 0x80000000, 0, s8
	v_lshlrev_b32_e32 v10, 1, v15
	s_delay_alu instid0(VALU_DEP_1)
	v_add_nc_u32_e32 v9, v9, v10
	s_wait_dscnt 0x0
	s_clause 0x1
	buffer_atomic_pk_add_f16 v7, v9, s[24:27], null offen
	buffer_atomic_pk_add_f16 v8, v9, s[24:27], s17 offen
	ds_load_b64 v[7:8], v0 offset:8
	v_cndmask_b32_e64 v9, 0x80000000, 0, s7
	v_cmp_gt_i32_e64 s7, s20, v16
	s_delay_alu instid0(VALU_DEP_2)
	v_add_nc_u32_e32 v9, v10, v9
	s_wait_dscnt 0x0
	s_clause 0x1
	buffer_atomic_pk_add_f16 v7, v9, s[24:27], null offen offset:8
	buffer_atomic_pk_add_f16 v8, v9, s[24:27], s17 offen offset:8
	s_wait_dscnt 0x0
	s_barrier_signal -1
	s_barrier_wait -1
	s_clause 0x1
	scratch_load_b128 v[7:10], off, off offset:2464
	scratch_load_b128 v[11:14], off, off offset:2480
	s_and_b32 s8, vcc_lo, s7
	s_wait_loadcnt 0x1
	v_cvt_f16_f32_e32 v7, v7
	v_cvt_f16_f32_e32 v8, v8
	;; [unrolled: 1-line block ×4, first 2 shown]
	s_wait_loadcnt 0x0
	v_cvt_f16_f32_e32 v11, v11
	v_cvt_f16_f32_e32 v12, v12
	;; [unrolled: 1-line block ×4, first 2 shown]
	ds_store_b16 v1, v7
	ds_store_b16 v1, v8 offset:128
	ds_store_b16 v1, v9 offset:256
	;; [unrolled: 1-line block ×7, first 2 shown]
	s_wait_dscnt 0x0
	s_barrier_signal -1
	s_barrier_wait -1
	ds_load_b64 v[7:8], v0
	s_wait_alu 0xfffe
	v_cndmask_b32_e64 v9, 0x80000000, 0, s8
	s_and_b32 s8, s7, s0
	s_delay_alu instid0(VALU_DEP_1)
	v_add_nc_u32_e32 v9, v19, v9
	s_wait_dscnt 0x0
	s_clause 0x1
	buffer_atomic_pk_add_f16 v7, v9, s[24:27], null offen
	buffer_atomic_pk_add_f16 v8, v9, s[24:27], s17 offen
	ds_load_b64 v[7:8], v0 offset:8
	v_cndmask_b32_e64 v9, 0x80000008, 8, s8
	s_and_b32 s8, s7, s1
	s_delay_alu instid0(VALU_DEP_1)
	v_add_nc_u32_e32 v9, v19, v9
	s_wait_dscnt 0x0
	s_clause 0x1
	buffer_atomic_pk_add_f16 v7, v9, s[24:27], null offen
	buffer_atomic_pk_add_f16 v8, v9, s[24:27], s17 offen
	s_wait_dscnt 0x0
	s_barrier_signal -1
	s_barrier_wait -1
	s_clause 0x1
	scratch_load_b128 v[7:10], off, off offset:2496
	scratch_load_b128 v[11:14], off, off offset:2512
	s_wait_loadcnt 0x1
	v_cvt_f16_f32_e32 v7, v7
	v_cvt_f16_f32_e32 v8, v8
	;; [unrolled: 1-line block ×4, first 2 shown]
	s_wait_loadcnt 0x0
	v_cvt_f16_f32_e32 v11, v11
	v_cvt_f16_f32_e32 v12, v12
	;; [unrolled: 1-line block ×4, first 2 shown]
	ds_store_b16 v1, v7
	ds_store_b16 v1, v8 offset:128
	ds_store_b16 v1, v9 offset:256
	;; [unrolled: 1-line block ×7, first 2 shown]
	s_wait_dscnt 0x0
	s_barrier_signal -1
	s_barrier_wait -1
	ds_load_b64 v[8:9], v0
	v_mov_b32_e32 v7, 0x80
	s_delay_alu instid0(VALU_DEP_1) | instskip(SKIP_1) | instid1(VALU_DEP_1)
	v_cndmask_b32_e64 v10, 0x80000080, v7, s8
	s_and_b32 s8, s7, s2
	v_add_nc_u32_e32 v10, v19, v10
	s_wait_dscnt 0x0
	s_clause 0x1
	buffer_atomic_pk_add_f16 v8, v10, s[24:27], null offen
	buffer_atomic_pk_add_f16 v9, v10, s[24:27], s17 offen
	ds_load_b64 v[9:10], v0 offset:8
	v_mov_b32_e32 v8, 0x88
	s_delay_alu instid0(VALU_DEP_1) | instskip(SKIP_1) | instid1(VALU_DEP_1)
	v_cndmask_b32_e64 v11, 0x80000088, v8, s8
	s_and_b32 s8, s7, s3
	v_add_nc_u32_e32 v11, v19, v11
	s_wait_dscnt 0x0
	s_clause 0x1
	buffer_atomic_pk_add_f16 v9, v11, s[24:27], null offen
	buffer_atomic_pk_add_f16 v10, v11, s[24:27], s17 offen
	s_wait_dscnt 0x0
	s_barrier_signal -1
	s_barrier_wait -1
	s_clause 0x1
	scratch_load_b128 v[9:12], off, off offset:2528
	scratch_load_b128 v[13:16], off, off offset:2544
	s_wait_loadcnt 0x1
	v_cvt_f16_f32_e32 v9, v9
	v_cvt_f16_f32_e32 v10, v10
	;; [unrolled: 1-line block ×4, first 2 shown]
	s_wait_loadcnt 0x0
	v_cvt_f16_f32_e32 v13, v13
	v_cvt_f16_f32_e32 v14, v14
	;; [unrolled: 1-line block ×4, first 2 shown]
	ds_store_b16 v1, v9
	ds_store_b16 v1, v10 offset:128
	ds_store_b16 v1, v11 offset:256
	;; [unrolled: 1-line block ×7, first 2 shown]
	s_wait_dscnt 0x0
	s_barrier_signal -1
	s_barrier_wait -1
	ds_load_b64 v[10:11], v0
	v_mov_b32_e32 v9, 0x100
	s_delay_alu instid0(VALU_DEP_1) | instskip(SKIP_1) | instid1(VALU_DEP_1)
	v_cndmask_b32_e64 v12, 0x80000100, v9, s8
	s_and_b32 s8, s7, s4
	v_add_nc_u32_e32 v12, v19, v12
	s_wait_dscnt 0x0
	s_clause 0x1
	buffer_atomic_pk_add_f16 v10, v12, s[24:27], null offen
	buffer_atomic_pk_add_f16 v11, v12, s[24:27], s17 offen
	ds_load_b64 v[11:12], v0 offset:8
	v_mov_b32_e32 v10, 0x108
	s_delay_alu instid0(VALU_DEP_1) | instskip(SKIP_2) | instid1(VALU_DEP_1)
	v_cndmask_b32_e64 v13, 0x80000108, v10, s8
	s_and_b32 s8, s7, s5
	s_and_b32 s7, s7, s6
	v_add_nc_u32_e32 v13, v19, v13
	s_wait_dscnt 0x0
	s_clause 0x1
	buffer_atomic_pk_add_f16 v11, v13, s[24:27], null offen
	buffer_atomic_pk_add_f16 v12, v13, s[24:27], s17 offen
	s_wait_dscnt 0x0
	s_barrier_signal -1
	s_barrier_wait -1
	s_clause 0x1
	scratch_load_b128 v[11:14], off, off offset:2560
	scratch_load_b128 v[15:18], off, off offset:2576
	s_wait_loadcnt 0x1
	v_cvt_f16_f32_e32 v11, v11
	v_cvt_f16_f32_e32 v12, v12
	;; [unrolled: 1-line block ×4, first 2 shown]
	s_wait_loadcnt 0x0
	v_cvt_f16_f32_e32 v15, v15
	v_cvt_f16_f32_e32 v16, v16
	v_cvt_f16_f32_e32 v17, v17
	v_cvt_f16_f32_e32 v18, v18
	ds_store_b16 v1, v11
	ds_store_b16 v1, v12 offset:128
	ds_store_b16 v1, v13 offset:256
	;; [unrolled: 1-line block ×7, first 2 shown]
	s_wait_dscnt 0x0
	s_barrier_signal -1
	s_barrier_wait -1
	ds_load_b64 v[11:12], v0
	v_cndmask_b32_e64 v13, 0x80000000, 0, s8
	s_delay_alu instid0(VALU_DEP_1)
	v_lshl_add_u32 v13, v21, 1, v13
	s_wait_dscnt 0x0
	s_clause 0x1
	buffer_atomic_pk_add_f16 v11, v13, s[24:27], null offen
	buffer_atomic_pk_add_f16 v12, v13, s[24:27], s17 offen
	ds_load_b64 v[12:13], v0 offset:8
	v_mov_b32_e32 v11, 0x188
	v_add_lshl_u32 v21, v21, s9, 1
	s_delay_alu instid0(VALU_DEP_2) | instskip(SKIP_1) | instid1(VALU_DEP_2)
	v_cndmask_b32_e64 v14, 0x80000188, v11, s7
	v_cmp_gt_i32_e64 s7, s20, v22
	v_add_nc_u32_e32 v14, v19, v14
	s_wait_dscnt 0x0
	s_clause 0x1
	buffer_atomic_pk_add_f16 v12, v14, s[24:27], null offen
	buffer_atomic_pk_add_f16 v13, v14, s[24:27], s17 offen
	s_wait_dscnt 0x0
	s_barrier_signal -1
	s_barrier_wait -1
	s_clause 0x1
	scratch_load_b128 v[12:15], off, off offset:2688
	scratch_load_b128 v[16:19], off, off offset:2704
	s_and_b32 s8, s7, s5
	s_wait_loadcnt 0x1
	v_cvt_f16_f32_e32 v12, v12
	v_cvt_f16_f32_e32 v13, v13
	;; [unrolled: 1-line block ×4, first 2 shown]
	s_wait_loadcnt 0x0
	v_cvt_f16_f32_e32 v16, v16
	v_cvt_f16_f32_e32 v17, v17
	;; [unrolled: 1-line block ×4, first 2 shown]
	ds_store_b16 v1, v12
	ds_store_b16 v1, v13 offset:128
	ds_store_b16 v1, v14 offset:256
	;; [unrolled: 1-line block ×7, first 2 shown]
	s_wait_dscnt 0x0
	s_barrier_signal -1
	s_barrier_wait -1
	ds_load_b64 v[12:13], v0
	s_wait_alu 0xfffe
	v_cndmask_b32_e64 v14, 0x80000000, 0, s8
	s_and_b32 s8, s7, s6
	s_delay_alu instid0(VALU_DEP_1)
	v_add_nc_u32_e32 v14, v21, v14
	s_wait_dscnt 0x0
	s_clause 0x1
	buffer_atomic_pk_add_f16 v12, v14, s[24:27], null offen
	buffer_atomic_pk_add_f16 v13, v14, s[24:27], s17 offen
	ds_load_b64 v[12:13], v0 offset:8
	v_cndmask_b32_e64 v14, 0x80000008, 8, s8
	s_and_b32 s8, s7, s3
	s_delay_alu instid0(VALU_DEP_1)
	v_add_nc_u32_e32 v14, v21, v14
	s_wait_dscnt 0x0
	s_clause 0x1
	buffer_atomic_pk_add_f16 v12, v14, s[24:27], null offen
	buffer_atomic_pk_add_f16 v13, v14, s[24:27], s17 offen
	s_wait_dscnt 0x0
	s_barrier_signal -1
	s_barrier_wait -1
	s_clause 0x1
	scratch_load_b128 v[12:15], off, off offset:2656
	scratch_load_b128 v[16:19], off, off offset:2672
	s_wait_loadcnt 0x1
	v_cvt_f16_f32_e32 v12, v12
	v_cvt_f16_f32_e32 v13, v13
	;; [unrolled: 1-line block ×4, first 2 shown]
	s_wait_loadcnt 0x0
	v_cvt_f16_f32_e32 v16, v16
	v_cvt_f16_f32_e32 v17, v17
	;; [unrolled: 1-line block ×4, first 2 shown]
	ds_store_b16 v1, v12
	ds_store_b16 v1, v13 offset:128
	ds_store_b16 v1, v14 offset:256
	;; [unrolled: 1-line block ×7, first 2 shown]
	s_wait_dscnt 0x0
	s_barrier_signal -1
	s_barrier_wait -1
	ds_load_b64 v[12:13], v0
	v_cndmask_b32_e64 v14, 0x7fffff80, v3, s8
	s_and_b32 s8, s7, s4
	s_delay_alu instid0(VALU_DEP_1)
	v_add_nc_u32_e32 v14, v21, v14
	s_wait_dscnt 0x0
	s_clause 0x1
	buffer_atomic_pk_add_f16 v12, v14, s[24:27], null offen
	buffer_atomic_pk_add_f16 v13, v14, s[24:27], s17 offen
	ds_load_b64 v[12:13], v0 offset:8
	v_cndmask_b32_e64 v14, 0x7fffff88, v4, s8
	s_and_b32 s8, s7, s1
	s_delay_alu instid0(VALU_DEP_1)
	v_add_nc_u32_e32 v14, v21, v14
	s_wait_dscnt 0x0
	s_clause 0x1
	buffer_atomic_pk_add_f16 v12, v14, s[24:27], null offen
	buffer_atomic_pk_add_f16 v13, v14, s[24:27], s17 offen
	s_wait_dscnt 0x0
	s_barrier_signal -1
	s_barrier_wait -1
	s_clause 0x1
	scratch_load_b128 v[12:15], off, off offset:2624
	scratch_load_b128 v[16:19], off, off offset:2640
	s_wait_loadcnt 0x1
	v_cvt_f16_f32_e32 v12, v12
	v_cvt_f16_f32_e32 v13, v13
	;; [unrolled: 1-line block ×4, first 2 shown]
	s_wait_loadcnt 0x0
	v_cvt_f16_f32_e32 v16, v16
	v_cvt_f16_f32_e32 v17, v17
	;; [unrolled: 1-line block ×4, first 2 shown]
	ds_store_b16 v1, v12
	ds_store_b16 v1, v13 offset:128
	ds_store_b16 v1, v14 offset:256
	;; [unrolled: 1-line block ×7, first 2 shown]
	s_wait_dscnt 0x0
	s_barrier_signal -1
	s_barrier_wait -1
	ds_load_b64 v[12:13], v0
	v_cndmask_b32_e64 v14, 0x7fffff00, v5, s8
	s_and_b32 s8, s7, s2
	s_delay_alu instid0(VALU_DEP_1)
	v_add_nc_u32_e32 v14, v21, v14
	s_wait_dscnt 0x0
	s_clause 0x1
	buffer_atomic_pk_add_f16 v12, v14, s[24:27], null offen
	buffer_atomic_pk_add_f16 v13, v14, s[24:27], s17 offen
	ds_load_b64 v[12:13], v0 offset:8
	v_cndmask_b32_e64 v14, 0x7fffff08, v6, s8
	s_and_b32 s8, vcc_lo, s7
	s_and_b32 s7, s7, s0
	s_delay_alu instid0(VALU_DEP_1)
	v_add_nc_u32_e32 v14, v21, v14
	s_wait_dscnt 0x0
	s_clause 0x1
	buffer_atomic_pk_add_f16 v12, v14, s[24:27], null offen
	buffer_atomic_pk_add_f16 v13, v14, s[24:27], s17 offen
	s_wait_dscnt 0x0
	s_barrier_signal -1
	s_barrier_wait -1
	s_clause 0x1
	scratch_load_b128 v[12:15], off, off offset:2592
	scratch_load_b128 v[16:19], off, off offset:2608
	v_or_b32_e32 v21, 0x80, v2
	s_wait_loadcnt 0x1
	v_cvt_f16_f32_e32 v12, v12
	v_cvt_f16_f32_e32 v13, v13
	;; [unrolled: 1-line block ×4, first 2 shown]
	s_wait_loadcnt 0x0
	v_cvt_f16_f32_e32 v16, v16
	v_cvt_f16_f32_e32 v17, v17
	;; [unrolled: 1-line block ×4, first 2 shown]
	ds_store_b16 v1, v12
	ds_store_b16 v1, v13 offset:128
	ds_store_b16 v1, v14 offset:256
	;; [unrolled: 1-line block ×7, first 2 shown]
	s_wait_dscnt 0x0
	s_barrier_signal -1
	s_barrier_wait -1
	ds_load_b64 v[12:13], v0
	v_cndmask_b32_e64 v14, 0x80000000, 0, s8
	v_lshlrev_b32_e32 v15, 1, v20
	v_add_nc_u32_e32 v20, s9, v20
	s_delay_alu instid0(VALU_DEP_2)
	v_add_nc_u32_e32 v14, v15, v14
	s_wait_dscnt 0x0
	s_clause 0x1
	buffer_atomic_pk_add_f16 v12, v14, s[24:27], null offen
	buffer_atomic_pk_add_f16 v13, v14, s[24:27], s17 offen
	ds_load_b64 v[12:13], v0 offset:8
	v_cndmask_b32_e64 v14, 0x80000008, 8, s7
	v_cmp_gt_i32_e64 s7, s20, v21
	v_lshlrev_b32_e32 v21, 1, v20
	v_add_nc_u32_e32 v22, 0xc0, v20
	v_add_nc_u32_e32 v20, s9, v20
	;; [unrolled: 1-line block ×3, first 2 shown]
	s_wait_dscnt 0x0
	s_clause 0x1
	buffer_atomic_pk_add_f16 v12, v14, s[24:27], null offen
	buffer_atomic_pk_add_f16 v13, v14, s[24:27], s17 offen
	s_wait_dscnt 0x0
	s_barrier_signal -1
	s_barrier_wait -1
	s_clause 0x1
	scratch_load_b128 v[12:15], off, off offset:2720
	scratch_load_b128 v[16:19], off, off offset:2736
	s_and_b32 s8, vcc_lo, s7
	s_wait_loadcnt 0x1
	v_cvt_f16_f32_e32 v12, v12
	v_cvt_f16_f32_e32 v13, v13
	;; [unrolled: 1-line block ×4, first 2 shown]
	s_wait_loadcnt 0x0
	v_cvt_f16_f32_e32 v16, v16
	v_cvt_f16_f32_e32 v17, v17
	;; [unrolled: 1-line block ×4, first 2 shown]
	ds_store_b16 v1, v12
	ds_store_b16 v1, v13 offset:128
	ds_store_b16 v1, v14 offset:256
	;; [unrolled: 1-line block ×7, first 2 shown]
	s_wait_dscnt 0x0
	s_barrier_signal -1
	s_barrier_wait -1
	ds_load_b64 v[12:13], v0
	s_wait_alu 0xfffe
	v_cndmask_b32_e64 v14, 0x80000000, 0, s8
	s_and_b32 s8, s7, s0
	s_delay_alu instid0(VALU_DEP_1)
	v_add_nc_u32_e32 v14, v21, v14
	s_wait_dscnt 0x0
	s_clause 0x1
	buffer_atomic_pk_add_f16 v12, v14, s[24:27], null offen
	buffer_atomic_pk_add_f16 v13, v14, s[24:27], s17 offen
	ds_load_b64 v[12:13], v0 offset:8
	v_cndmask_b32_e64 v14, 0x80000008, 8, s8
	s_and_b32 s8, s7, s1
	s_delay_alu instid0(VALU_DEP_1)
	v_add_nc_u32_e32 v14, v21, v14
	s_wait_dscnt 0x0
	s_clause 0x1
	buffer_atomic_pk_add_f16 v12, v14, s[24:27], null offen
	buffer_atomic_pk_add_f16 v13, v14, s[24:27], s17 offen
	s_wait_dscnt 0x0
	s_barrier_signal -1
	s_barrier_wait -1
	s_clause 0x1
	scratch_load_b128 v[12:15], off, off offset:2752
	scratch_load_b128 v[16:19], off, off offset:2768
	s_wait_loadcnt 0x1
	v_cvt_f16_f32_e32 v12, v12
	v_cvt_f16_f32_e32 v13, v13
	;; [unrolled: 1-line block ×4, first 2 shown]
	s_wait_loadcnt 0x0
	v_cvt_f16_f32_e32 v16, v16
	v_cvt_f16_f32_e32 v17, v17
	;; [unrolled: 1-line block ×4, first 2 shown]
	ds_store_b16 v1, v12
	ds_store_b16 v1, v13 offset:128
	ds_store_b16 v1, v14 offset:256
	;; [unrolled: 1-line block ×7, first 2 shown]
	s_wait_dscnt 0x0
	s_barrier_signal -1
	s_barrier_wait -1
	ds_load_b64 v[12:13], v0
	v_cndmask_b32_e64 v14, 0x80000080, v7, s8
	s_and_b32 s8, s7, s2
	s_delay_alu instid0(VALU_DEP_1)
	v_add_nc_u32_e32 v14, v21, v14
	s_wait_dscnt 0x0
	s_clause 0x1
	buffer_atomic_pk_add_f16 v12, v14, s[24:27], null offen
	buffer_atomic_pk_add_f16 v13, v14, s[24:27], s17 offen
	ds_load_b64 v[12:13], v0 offset:8
	v_cndmask_b32_e64 v14, 0x80000088, v8, s8
	s_and_b32 s8, s7, s3
	s_delay_alu instid0(VALU_DEP_1)
	v_add_nc_u32_e32 v14, v21, v14
	s_wait_dscnt 0x0
	s_clause 0x1
	buffer_atomic_pk_add_f16 v12, v14, s[24:27], null offen
	buffer_atomic_pk_add_f16 v13, v14, s[24:27], s17 offen
	s_wait_dscnt 0x0
	s_barrier_signal -1
	s_barrier_wait -1
	s_clause 0x1
	scratch_load_b128 v[12:15], off, off offset:2784
	scratch_load_b128 v[16:19], off, off offset:2800
	s_wait_loadcnt 0x1
	v_cvt_f16_f32_e32 v12, v12
	v_cvt_f16_f32_e32 v13, v13
	;; [unrolled: 1-line block ×4, first 2 shown]
	s_wait_loadcnt 0x0
	v_cvt_f16_f32_e32 v16, v16
	v_cvt_f16_f32_e32 v17, v17
	;; [unrolled: 1-line block ×4, first 2 shown]
	ds_store_b16 v1, v12
	ds_store_b16 v1, v13 offset:128
	ds_store_b16 v1, v14 offset:256
	;; [unrolled: 1-line block ×7, first 2 shown]
	s_wait_dscnt 0x0
	s_barrier_signal -1
	s_barrier_wait -1
	ds_load_b64 v[12:13], v0
	v_cndmask_b32_e64 v14, 0x80000100, v9, s8
	s_and_b32 s8, s7, s4
	s_delay_alu instid0(VALU_DEP_1)
	v_add_nc_u32_e32 v14, v21, v14
	s_wait_dscnt 0x0
	s_clause 0x1
	buffer_atomic_pk_add_f16 v12, v14, s[24:27], null offen
	buffer_atomic_pk_add_f16 v13, v14, s[24:27], s17 offen
	ds_load_b64 v[12:13], v0 offset:8
	v_cndmask_b32_e64 v14, 0x80000108, v10, s8
	s_and_b32 s8, s7, s5
	s_and_b32 s7, s7, s6
	s_delay_alu instid0(VALU_DEP_1)
	v_add_nc_u32_e32 v14, v21, v14
	s_wait_dscnt 0x0
	s_clause 0x1
	buffer_atomic_pk_add_f16 v12, v14, s[24:27], null offen
	buffer_atomic_pk_add_f16 v13, v14, s[24:27], s17 offen
	s_wait_dscnt 0x0
	s_barrier_signal -1
	s_barrier_wait -1
	s_clause 0x1
	scratch_load_b128 v[12:15], off, off offset:2816
	scratch_load_b128 v[16:19], off, off offset:2832
	s_wait_loadcnt 0x1
	v_cvt_f16_f32_e32 v12, v12
	v_cvt_f16_f32_e32 v13, v13
	;; [unrolled: 1-line block ×4, first 2 shown]
	s_wait_loadcnt 0x0
	v_cvt_f16_f32_e32 v16, v16
	v_cvt_f16_f32_e32 v17, v17
	;; [unrolled: 1-line block ×4, first 2 shown]
	ds_store_b16 v1, v12
	ds_store_b16 v1, v13 offset:128
	ds_store_b16 v1, v14 offset:256
	;; [unrolled: 1-line block ×7, first 2 shown]
	s_wait_dscnt 0x0
	s_barrier_signal -1
	s_barrier_wait -1
	ds_load_b64 v[12:13], v0
	v_cndmask_b32_e64 v14, 0x80000000, 0, s8
	s_delay_alu instid0(VALU_DEP_1)
	v_lshl_add_u32 v14, v22, 1, v14
	s_wait_dscnt 0x0
	s_clause 0x1
	buffer_atomic_pk_add_f16 v12, v14, s[24:27], null offen
	buffer_atomic_pk_add_f16 v13, v14, s[24:27], s17 offen
	ds_load_b64 v[12:13], v0 offset:8
	v_cndmask_b32_e64 v14, 0x80000188, v11, s7
	s_delay_alu instid0(VALU_DEP_1)
	v_add_nc_u32_e32 v14, v21, v14
	s_wait_dscnt 0x0
	s_clause 0x1
	buffer_atomic_pk_add_f16 v12, v14, s[24:27], null offen
	buffer_atomic_pk_add_f16 v13, v14, s[24:27], s17 offen
	s_wait_dscnt 0x0
	s_barrier_signal -1
	s_barrier_wait -1
	s_clause 0x1
	scratch_load_b128 v[12:15], off, off offset:2944
	scratch_load_b128 v[16:19], off, off offset:2960
	v_or_b32_e32 v21, 0xa0, v2
	s_delay_alu instid0(VALU_DEP_1)
	v_cmp_gt_i32_e64 s7, s20, v21
	v_add_lshl_u32 v21, v22, s9, 1
	s_and_b32 s8, s7, s5
	s_wait_loadcnt 0x1
	v_cvt_f16_f32_e32 v12, v12
	v_cvt_f16_f32_e32 v13, v13
	;; [unrolled: 1-line block ×4, first 2 shown]
	s_wait_loadcnt 0x0
	v_cvt_f16_f32_e32 v16, v16
	v_cvt_f16_f32_e32 v17, v17
	;; [unrolled: 1-line block ×4, first 2 shown]
	ds_store_b16 v1, v12
	ds_store_b16 v1, v13 offset:128
	ds_store_b16 v1, v14 offset:256
	;; [unrolled: 1-line block ×7, first 2 shown]
	s_wait_dscnt 0x0
	s_barrier_signal -1
	s_barrier_wait -1
	ds_load_b64 v[12:13], v0
	s_wait_alu 0xfffe
	v_cndmask_b32_e64 v14, 0x80000000, 0, s8
	s_and_b32 s8, s7, s6
	s_delay_alu instid0(VALU_DEP_1)
	v_add_nc_u32_e32 v14, v21, v14
	s_wait_dscnt 0x0
	s_clause 0x1
	buffer_atomic_pk_add_f16 v12, v14, s[24:27], null offen
	buffer_atomic_pk_add_f16 v13, v14, s[24:27], s17 offen
	ds_load_b64 v[12:13], v0 offset:8
	v_cndmask_b32_e64 v14, 0x80000008, 8, s8
	s_and_b32 s8, s7, s3
	s_delay_alu instid0(VALU_DEP_1)
	v_add_nc_u32_e32 v14, v21, v14
	s_wait_dscnt 0x0
	s_clause 0x1
	buffer_atomic_pk_add_f16 v12, v14, s[24:27], null offen
	buffer_atomic_pk_add_f16 v13, v14, s[24:27], s17 offen
	s_wait_dscnt 0x0
	s_barrier_signal -1
	s_barrier_wait -1
	s_clause 0x1
	scratch_load_b128 v[12:15], off, off offset:2912
	scratch_load_b128 v[16:19], off, off offset:2928
	s_wait_loadcnt 0x1
	v_cvt_f16_f32_e32 v12, v12
	v_cvt_f16_f32_e32 v13, v13
	;; [unrolled: 1-line block ×4, first 2 shown]
	s_wait_loadcnt 0x0
	v_cvt_f16_f32_e32 v16, v16
	v_cvt_f16_f32_e32 v17, v17
	;; [unrolled: 1-line block ×4, first 2 shown]
	ds_store_b16 v1, v12
	ds_store_b16 v1, v13 offset:128
	ds_store_b16 v1, v14 offset:256
	;; [unrolled: 1-line block ×7, first 2 shown]
	s_wait_dscnt 0x0
	s_barrier_signal -1
	s_barrier_wait -1
	ds_load_b64 v[12:13], v0
	v_cndmask_b32_e64 v14, 0x7fffff80, v3, s8
	s_and_b32 s8, s7, s4
	s_delay_alu instid0(VALU_DEP_1)
	v_add_nc_u32_e32 v14, v21, v14
	s_wait_dscnt 0x0
	s_clause 0x1
	buffer_atomic_pk_add_f16 v12, v14, s[24:27], null offen
	buffer_atomic_pk_add_f16 v13, v14, s[24:27], s17 offen
	ds_load_b64 v[12:13], v0 offset:8
	v_cndmask_b32_e64 v14, 0x7fffff88, v4, s8
	s_and_b32 s8, s7, s1
	s_delay_alu instid0(VALU_DEP_1)
	v_add_nc_u32_e32 v14, v21, v14
	s_wait_dscnt 0x0
	s_clause 0x1
	buffer_atomic_pk_add_f16 v12, v14, s[24:27], null offen
	buffer_atomic_pk_add_f16 v13, v14, s[24:27], s17 offen
	s_wait_dscnt 0x0
	s_barrier_signal -1
	s_barrier_wait -1
	s_clause 0x1
	scratch_load_b128 v[12:15], off, off offset:2880
	scratch_load_b128 v[16:19], off, off offset:2896
	s_wait_loadcnt 0x1
	v_cvt_f16_f32_e32 v12, v12
	v_cvt_f16_f32_e32 v13, v13
	;; [unrolled: 1-line block ×4, first 2 shown]
	s_wait_loadcnt 0x0
	v_cvt_f16_f32_e32 v16, v16
	v_cvt_f16_f32_e32 v17, v17
	;; [unrolled: 1-line block ×4, first 2 shown]
	ds_store_b16 v1, v12
	ds_store_b16 v1, v13 offset:128
	ds_store_b16 v1, v14 offset:256
	;; [unrolled: 1-line block ×7, first 2 shown]
	s_wait_dscnt 0x0
	s_barrier_signal -1
	s_barrier_wait -1
	ds_load_b64 v[12:13], v0
	v_cndmask_b32_e64 v14, 0x7fffff00, v5, s8
	s_and_b32 s8, s7, s2
	s_delay_alu instid0(VALU_DEP_1)
	v_add_nc_u32_e32 v14, v21, v14
	s_wait_dscnt 0x0
	s_clause 0x1
	buffer_atomic_pk_add_f16 v12, v14, s[24:27], null offen
	buffer_atomic_pk_add_f16 v13, v14, s[24:27], s17 offen
	ds_load_b64 v[12:13], v0 offset:8
	v_cndmask_b32_e64 v14, 0x7fffff08, v6, s8
	s_and_b32 s8, vcc_lo, s7
	s_and_b32 s7, s7, s0
	s_delay_alu instid0(VALU_DEP_1)
	v_add_nc_u32_e32 v14, v21, v14
	s_wait_dscnt 0x0
	s_clause 0x1
	buffer_atomic_pk_add_f16 v12, v14, s[24:27], null offen
	buffer_atomic_pk_add_f16 v13, v14, s[24:27], s17 offen
	s_wait_dscnt 0x0
	s_barrier_signal -1
	s_barrier_wait -1
	s_clause 0x1
	scratch_load_b128 v[12:15], off, off offset:2848
	scratch_load_b128 v[16:19], off, off offset:2864
	v_or_b32_e32 v21, 0xc0, v2
	v_or_b32_e32 v2, 0xe0, v2
	s_wait_loadcnt 0x1
	v_cvt_f16_f32_e32 v12, v12
	v_cvt_f16_f32_e32 v13, v13
	;; [unrolled: 1-line block ×4, first 2 shown]
	s_wait_loadcnt 0x0
	v_cvt_f16_f32_e32 v16, v16
	v_cvt_f16_f32_e32 v17, v17
	;; [unrolled: 1-line block ×4, first 2 shown]
	ds_store_b16 v1, v12
	ds_store_b16 v1, v13 offset:128
	ds_store_b16 v1, v14 offset:256
	;; [unrolled: 1-line block ×7, first 2 shown]
	s_wait_dscnt 0x0
	s_barrier_signal -1
	s_barrier_wait -1
	ds_load_b64 v[12:13], v0
	v_cndmask_b32_e64 v14, 0x80000000, 0, s8
	v_lshlrev_b32_e32 v15, 1, v20
	v_add_nc_u32_e32 v20, s9, v20
	s_delay_alu instid0(VALU_DEP_2)
	v_add_nc_u32_e32 v14, v15, v14
	s_wait_dscnt 0x0
	s_clause 0x1
	buffer_atomic_pk_add_f16 v12, v14, s[24:27], null offen
	buffer_atomic_pk_add_f16 v13, v14, s[24:27], s17 offen
	ds_load_b64 v[12:13], v0 offset:8
	v_cndmask_b32_e64 v14, 0x80000008, 8, s7
	v_cmp_gt_i32_e64 s7, s20, v21
	v_lshlrev_b32_e32 v21, 1, v20
	s_delay_alu instid0(VALU_DEP_3)
	v_add_nc_u32_e32 v14, v15, v14
	s_wait_dscnt 0x0
	s_clause 0x1
	buffer_atomic_pk_add_f16 v12, v14, s[24:27], null offen
	buffer_atomic_pk_add_f16 v13, v14, s[24:27], s17 offen
	s_wait_dscnt 0x0
	s_barrier_signal -1
	s_barrier_wait -1
	s_clause 0x1
	scratch_load_b128 v[12:15], off, off offset:2976
	scratch_load_b128 v[16:19], off, off offset:2992
	s_and_b32 s8, vcc_lo, s7
	s_wait_loadcnt 0x1
	v_cvt_f16_f32_e32 v12, v12
	v_cvt_f16_f32_e32 v13, v13
	;; [unrolled: 1-line block ×4, first 2 shown]
	s_wait_loadcnt 0x0
	v_cvt_f16_f32_e32 v16, v16
	v_cvt_f16_f32_e32 v17, v17
	;; [unrolled: 1-line block ×4, first 2 shown]
	ds_store_b16 v1, v12
	ds_store_b16 v1, v13 offset:128
	ds_store_b16 v1, v14 offset:256
	;; [unrolled: 1-line block ×7, first 2 shown]
	s_wait_dscnt 0x0
	s_barrier_signal -1
	s_barrier_wait -1
	ds_load_b64 v[12:13], v0
	s_wait_alu 0xfffe
	v_cndmask_b32_e64 v14, 0x80000000, 0, s8
	s_and_b32 s8, s7, s0
	s_delay_alu instid0(VALU_DEP_1)
	v_add_nc_u32_e32 v14, v21, v14
	s_wait_dscnt 0x0
	s_clause 0x1
	buffer_atomic_pk_add_f16 v12, v14, s[24:27], null offen
	buffer_atomic_pk_add_f16 v13, v14, s[24:27], s17 offen
	ds_load_b64 v[12:13], v0 offset:8
	v_cndmask_b32_e64 v14, 0x80000008, 8, s8
	s_and_b32 s8, s7, s1
	s_wait_alu 0xfffe
	v_cndmask_b32_e64 v7, 0x80000080, v7, s8
	s_and_b32 s8, s7, s2
	v_add_nc_u32_e32 v14, v21, v14
	s_wait_dscnt 0x0
	s_clause 0x1
	buffer_atomic_pk_add_f16 v12, v14, s[24:27], null offen
	buffer_atomic_pk_add_f16 v13, v14, s[24:27], s17 offen
	s_wait_dscnt 0x0
	s_barrier_signal -1
	s_barrier_wait -1
	s_clause 0x1
	scratch_load_b128 v[12:15], off, off offset:3008
	scratch_load_b128 v[16:19], off, off offset:3024
	v_add_nc_u32_e32 v7, v21, v7
	s_wait_loadcnt 0x1
	v_cvt_f16_f32_e32 v12, v12
	v_cvt_f16_f32_e32 v13, v13
	;; [unrolled: 1-line block ×4, first 2 shown]
	s_wait_loadcnt 0x0
	v_cvt_f16_f32_e32 v16, v16
	v_cvt_f16_f32_e32 v17, v17
	;; [unrolled: 1-line block ×4, first 2 shown]
	ds_store_b16 v1, v12
	ds_store_b16 v1, v13 offset:128
	ds_store_b16 v1, v14 offset:256
	;; [unrolled: 1-line block ×7, first 2 shown]
	s_wait_dscnt 0x0
	s_barrier_signal -1
	s_barrier_wait -1
	ds_load_b64 v[12:13], v0
	s_wait_dscnt 0x0
	s_clause 0x1
	buffer_atomic_pk_add_f16 v12, v7, s[24:27], null offen
	buffer_atomic_pk_add_f16 v13, v7, s[24:27], s17 offen
	ds_load_b64 v[12:13], v0 offset:8
	v_cndmask_b32_e64 v7, 0x80000088, v8, s8
	s_and_b32 s8, s7, s3
	s_wait_alu 0xfffe
	v_cndmask_b32_e64 v9, 0x80000100, v9, s8
	s_and_b32 s8, s7, s4
	v_add_nc_u32_e32 v7, v21, v7
	s_wait_dscnt 0x0
	s_clause 0x1
	buffer_atomic_pk_add_f16 v12, v7, s[24:27], null offen
	buffer_atomic_pk_add_f16 v13, v7, s[24:27], s17 offen
	s_wait_dscnt 0x0
	s_barrier_signal -1
	s_barrier_wait -1
	s_clause 0x1
	scratch_load_b128 v[12:15], off, off offset:3040
	scratch_load_b128 v[16:19], off, off offset:3056
	v_add_nc_u32_e32 v9, v21, v9
	s_wait_loadcnt 0x1
	v_cvt_f16_f32_e32 v7, v12
	v_cvt_f16_f32_e32 v8, v13
	;; [unrolled: 1-line block ×4, first 2 shown]
	s_wait_loadcnt 0x0
	v_cvt_f16_f32_e32 v14, v16
	v_cvt_f16_f32_e32 v15, v17
	;; [unrolled: 1-line block ×4, first 2 shown]
	ds_store_b16 v1, v7
	ds_store_b16 v1, v8 offset:128
	ds_store_b16 v1, v12 offset:256
	;; [unrolled: 1-line block ×7, first 2 shown]
	s_wait_dscnt 0x0
	s_barrier_signal -1
	s_barrier_wait -1
	ds_load_b64 v[7:8], v0
	s_wait_dscnt 0x0
	s_clause 0x1
	buffer_atomic_pk_add_f16 v7, v9, s[24:27], null offen
	buffer_atomic_pk_add_f16 v8, v9, s[24:27], s17 offen
	ds_load_b64 v[7:8], v0 offset:8
	v_cndmask_b32_e64 v9, 0x80000108, v10, s8
	s_and_b32 s8, s7, s5
	s_and_b32 s7, s7, s6
	s_delay_alu instid0(VALU_DEP_1)
	v_add_nc_u32_e32 v9, v21, v9
	s_wait_dscnt 0x0
	s_clause 0x1
	buffer_atomic_pk_add_f16 v7, v9, s[24:27], null offen
	buffer_atomic_pk_add_f16 v8, v9, s[24:27], s17 offen
	s_wait_dscnt 0x0
	s_barrier_signal -1
	s_barrier_wait -1
	s_clause 0x1
	scratch_load_b128 v[7:10], off, off offset:3072
	scratch_load_b128 v[12:15], off, off offset:3088
	s_wait_loadcnt 0x1
	v_cvt_f16_f32_e32 v7, v7
	v_cvt_f16_f32_e32 v8, v8
	;; [unrolled: 1-line block ×4, first 2 shown]
	s_wait_loadcnt 0x0
	v_cvt_f16_f32_e32 v12, v12
	v_cvt_f16_f32_e32 v13, v13
	;; [unrolled: 1-line block ×4, first 2 shown]
	ds_store_b16 v1, v7
	ds_store_b16 v1, v8 offset:128
	ds_store_b16 v1, v9 offset:256
	;; [unrolled: 1-line block ×7, first 2 shown]
	s_wait_dscnt 0x0
	s_barrier_signal -1
	s_barrier_wait -1
	ds_load_b64 v[7:8], v0
	v_cndmask_b32_e64 v9, 0x80000000, 0, s8
	v_add_nc_u32_e32 v15, 0xc0, v20
	s_delay_alu instid0(VALU_DEP_1)
	v_lshl_add_u32 v9, v15, 1, v9
	s_wait_dscnt 0x0
	s_clause 0x1
	buffer_atomic_pk_add_f16 v7, v9, s[24:27], null offen
	buffer_atomic_pk_add_f16 v8, v9, s[24:27], s17 offen
	ds_load_b64 v[7:8], v0 offset:8
	v_cndmask_b32_e64 v9, 0x80000188, v11, s7
	v_cmp_gt_i32_e64 s7, s20, v2
	v_add_lshl_u32 v15, v15, s9, 1
	s_delay_alu instid0(VALU_DEP_3)
	v_add_nc_u32_e32 v9, v21, v9
	s_wait_dscnt 0x0
	s_clause 0x1
	buffer_atomic_pk_add_f16 v7, v9, s[24:27], null offen
	buffer_atomic_pk_add_f16 v8, v9, s[24:27], s17 offen
	s_wait_dscnt 0x0
	s_barrier_signal -1
	s_barrier_wait -1
	s_clause 0x1
	scratch_load_b128 v[7:10], off, off offset:3200
	scratch_load_b128 v[11:14], off, off offset:3216
	s_and_b32 s5, s7, s5
	s_and_b32 s3, s7, s3
	s_wait_alu 0xfffe
	v_cndmask_b32_e64 v2, 0x80000000, 0, s5
	s_and_b32 s5, s7, s6
	s_and_b32 s1, s7, s1
	;; [unrolled: 1-line block ×3, first 2 shown]
	s_delay_alu instid0(VALU_DEP_1)
	v_add_nc_u32_e32 v2, v15, v2
	s_wait_loadcnt 0x1
	v_cvt_f16_f32_e32 v7, v7
	v_cvt_f16_f32_e32 v8, v8
	v_cvt_f16_f32_e32 v9, v9
	v_cvt_f16_f32_e32 v10, v10
	s_wait_loadcnt 0x0
	v_cvt_f16_f32_e32 v11, v11
	v_cvt_f16_f32_e32 v12, v12
	;; [unrolled: 1-line block ×4, first 2 shown]
	ds_store_b16 v1, v7
	ds_store_b16 v1, v8 offset:128
	ds_store_b16 v1, v9 offset:256
	;; [unrolled: 1-line block ×7, first 2 shown]
	s_wait_dscnt 0x0
	s_barrier_signal -1
	s_barrier_wait -1
	ds_load_b64 v[7:8], v0
	s_wait_dscnt 0x0
	s_clause 0x1
	buffer_atomic_pk_add_f16 v7, v2, s[24:27], null offen
	buffer_atomic_pk_add_f16 v8, v2, s[24:27], s17 offen
	ds_load_b64 v[7:8], v0 offset:8
	v_cndmask_b32_e64 v2, 0x80000008, 8, s5
	s_delay_alu instid0(VALU_DEP_1)
	v_add_nc_u32_e32 v2, v15, v2
	s_wait_dscnt 0x0
	s_clause 0x1
	buffer_atomic_pk_add_f16 v7, v2, s[24:27], null offen
	buffer_atomic_pk_add_f16 v8, v2, s[24:27], s17 offen
	s_wait_dscnt 0x0
	s_barrier_signal -1
	s_barrier_wait -1
	s_clause 0x1
	scratch_load_b128 v[7:10], off, off offset:3168
	scratch_load_b128 v[11:14], off, off offset:3184
	s_wait_loadcnt 0x1
	v_cvt_f16_f32_e32 v2, v7
	v_cvt_f16_f32_e32 v7, v8
	v_cvt_f16_f32_e32 v8, v9
	v_cvt_f16_f32_e32 v9, v10
	s_wait_loadcnt 0x0
	v_cvt_f16_f32_e32 v10, v11
	v_cvt_f16_f32_e32 v11, v12
	;; [unrolled: 1-line block ×4, first 2 shown]
	ds_store_b16 v1, v2
	ds_store_b16 v1, v7 offset:128
	ds_store_b16 v1, v8 offset:256
	;; [unrolled: 1-line block ×7, first 2 shown]
	s_wait_dscnt 0x0
	s_barrier_signal -1
	s_barrier_wait -1
	ds_load_b64 v[7:8], v0
	v_cndmask_b32_e64 v2, 0x7fffff80, v3, s3
	s_and_b32 s3, s7, s4
	s_wait_alu 0xfffe
	v_cndmask_b32_e64 v4, 0x7fffff88, v4, s3
	s_delay_alu instid0(VALU_DEP_2)
	v_add_nc_u32_e32 v2, v15, v2
	s_wait_dscnt 0x0
	s_clause 0x1
	buffer_atomic_pk_add_f16 v7, v2, s[24:27], null offen
	buffer_atomic_pk_add_f16 v8, v2, s[24:27], s17 offen
	ds_load_b64 v[2:3], v0 offset:8
	v_add_nc_u32_e32 v4, v15, v4
	s_wait_dscnt 0x0
	s_clause 0x1
	buffer_atomic_pk_add_f16 v2, v4, s[24:27], null offen
	buffer_atomic_pk_add_f16 v3, v4, s[24:27], s17 offen
	s_wait_dscnt 0x0
	s_barrier_signal -1
	s_barrier_wait -1
	s_clause 0x1
	scratch_load_b128 v[7:10], off, off offset:3136
	scratch_load_b128 v[11:14], off, off offset:3152
	s_wait_loadcnt 0x1
	v_cvt_f16_f32_e32 v2, v7
	v_cvt_f16_f32_e32 v3, v8
	;; [unrolled: 1-line block ×4, first 2 shown]
	s_wait_loadcnt 0x0
	v_cvt_f16_f32_e32 v8, v11
	v_cvt_f16_f32_e32 v9, v12
	;; [unrolled: 1-line block ×4, first 2 shown]
	ds_store_b16 v1, v2
	ds_store_b16 v1, v3 offset:128
	ds_store_b16 v1, v4 offset:256
	;; [unrolled: 1-line block ×7, first 2 shown]
	s_wait_dscnt 0x0
	s_barrier_signal -1
	s_barrier_wait -1
	ds_load_b64 v[2:3], v0
	v_cndmask_b32_e64 v4, 0x7fffff00, v5, s1
	s_and_b32 s1, s7, s2
	s_delay_alu instid0(VALU_DEP_1)
	v_add_nc_u32_e32 v4, v15, v4
	s_wait_dscnt 0x0
	s_clause 0x1
	buffer_atomic_pk_add_f16 v2, v4, s[24:27], null offen
	buffer_atomic_pk_add_f16 v3, v4, s[24:27], s17 offen
	ds_load_b64 v[2:3], v0 offset:8
	v_cndmask_b32_e64 v4, 0x7fffff08, v6, s1
	s_and_b32 s1, vcc_lo, s7
	s_delay_alu instid0(VALU_DEP_1)
	v_add_nc_u32_e32 v4, v15, v4
	s_wait_dscnt 0x0
	s_clause 0x1
	buffer_atomic_pk_add_f16 v2, v4, s[24:27], null offen
	buffer_atomic_pk_add_f16 v3, v4, s[24:27], s17 offen
	s_wait_dscnt 0x0
	s_barrier_signal -1
	s_barrier_wait -1
	s_clause 0x1
	scratch_load_b128 v[2:5], off, off offset:3104
	scratch_load_b128 v[6:9], off, off offset:3120
	s_wait_loadcnt 0x1
	v_cvt_f16_f32_e32 v2, v2
	v_cvt_f16_f32_e32 v3, v3
	;; [unrolled: 1-line block ×4, first 2 shown]
	s_wait_loadcnt 0x0
	v_cvt_f16_f32_e32 v6, v6
	v_cvt_f16_f32_e32 v7, v7
	;; [unrolled: 1-line block ×4, first 2 shown]
	ds_store_b16 v1, v2
	ds_store_b16 v1, v3 offset:128
	ds_store_b16 v1, v4 offset:256
	;; [unrolled: 1-line block ×7, first 2 shown]
	s_wait_dscnt 0x0
	s_barrier_signal -1
	s_barrier_wait -1
	ds_load_b64 v[1:2], v0
	v_add_lshl_u32 v3, v20, s9, 1
	v_cndmask_b32_e64 v4, 0x80000000, 0, s1
	s_delay_alu instid0(VALU_DEP_1)
	v_add_nc_u32_e32 v4, v3, v4
	s_wait_dscnt 0x0
	s_clause 0x1
	buffer_atomic_pk_add_f16 v1, v4, s[24:27], null offen
	buffer_atomic_pk_add_f16 v2, v4, s[24:27], s17 offen
	ds_load_b64 v[0:1], v0 offset:8
	v_cndmask_b32_e64 v2, 0x80000008, 8, s0
	s_delay_alu instid0(VALU_DEP_1)
	v_add_nc_u32_e32 v2, v3, v2
	s_wait_dscnt 0x0
	s_clause 0x1
	buffer_atomic_pk_add_f16 v0, v2, s[24:27], null offen
	buffer_atomic_pk_add_f16 v1, v2, s[24:27], s17 offen
	s_endpgm
	.section	.rodata,"a",@progbits
	.p2align	6, 0x0
	.amdhsa_kernel _ZN2ck45kernel_gemm_xdl_cshuffle_v3_b_preshuffle_2ldsINS_41GridwiseGemm_xdl_cshuffle_v3_b_preshuffleINS_13tensor_layout4gemm8RowMajorENS3_11ColumnMajorES4_NS_9f8_fnuz_tENS_7pk_i4_tEfDF16_DF16_NS_16tensor_operation12element_wise11PassThroughESA_SA_LNS8_6device18GemmSpecializationE0ELi256ELi256ELi256ELi128ELi16ELi32ELi16ELi16ELi8ELi4ENS_8SequenceIJLi8ELi32ELi1EEEENSD_IJLi1ELi0ELi2EEEESF_Li2ELi16ELi16ELb0ELi0ENSD_IJLi4ELi64ELi1EEEESF_SF_Li2ELi32ELi32ELb0ELi0ELi1ELi1ENSD_IJLi1ELi32ELi1ELi8EEEELi4ELNS_26BlockGemmPipelineSchedulerE0ELNS_24BlockGemmPipelineVersionE2ES6_S6_Lb0ELb0ELi0EEELb1ELNS_25InMemoryDataOperationEnumE1ELi1ELNS_10TailNumberE1EEEvNT_8ArgumentE
		.amdhsa_group_segment_fixed_size 65536
		.amdhsa_private_segment_fixed_size 4400
		.amdhsa_kernarg_size 112
		.amdhsa_user_sgpr_count 2
		.amdhsa_user_sgpr_dispatch_ptr 0
		.amdhsa_user_sgpr_queue_ptr 0
		.amdhsa_user_sgpr_kernarg_segment_ptr 1
		.amdhsa_user_sgpr_dispatch_id 0
		.amdhsa_user_sgpr_private_segment_size 0
		.amdhsa_wavefront_size32 1
		.amdhsa_uses_dynamic_stack 0
		.amdhsa_enable_private_segment 1
		.amdhsa_system_sgpr_workgroup_id_x 1
		.amdhsa_system_sgpr_workgroup_id_y 0
		.amdhsa_system_sgpr_workgroup_id_z 1
		.amdhsa_system_sgpr_workgroup_info 0
		.amdhsa_system_vgpr_workitem_id 0
		.amdhsa_next_free_vgpr 241
		.amdhsa_next_free_sgpr 34
		.amdhsa_reserve_vcc 1
		.amdhsa_float_round_mode_32 0
		.amdhsa_float_round_mode_16_64 0
		.amdhsa_float_denorm_mode_32 3
		.amdhsa_float_denorm_mode_16_64 3
		.amdhsa_fp16_overflow 0
		.amdhsa_workgroup_processor_mode 1
		.amdhsa_memory_ordered 1
		.amdhsa_forward_progress 1
		.amdhsa_inst_pref_size 107
		.amdhsa_round_robin_scheduling 0
		.amdhsa_exception_fp_ieee_invalid_op 0
		.amdhsa_exception_fp_denorm_src 0
		.amdhsa_exception_fp_ieee_div_zero 0
		.amdhsa_exception_fp_ieee_overflow 0
		.amdhsa_exception_fp_ieee_underflow 0
		.amdhsa_exception_fp_ieee_inexact 0
		.amdhsa_exception_int_div_zero 0
	.end_amdhsa_kernel
	.section	.text._ZN2ck45kernel_gemm_xdl_cshuffle_v3_b_preshuffle_2ldsINS_41GridwiseGemm_xdl_cshuffle_v3_b_preshuffleINS_13tensor_layout4gemm8RowMajorENS3_11ColumnMajorES4_NS_9f8_fnuz_tENS_7pk_i4_tEfDF16_DF16_NS_16tensor_operation12element_wise11PassThroughESA_SA_LNS8_6device18GemmSpecializationE0ELi256ELi256ELi256ELi128ELi16ELi32ELi16ELi16ELi8ELi4ENS_8SequenceIJLi8ELi32ELi1EEEENSD_IJLi1ELi0ELi2EEEESF_Li2ELi16ELi16ELb0ELi0ENSD_IJLi4ELi64ELi1EEEESF_SF_Li2ELi32ELi32ELb0ELi0ELi1ELi1ENSD_IJLi1ELi32ELi1ELi8EEEELi4ELNS_26BlockGemmPipelineSchedulerE0ELNS_24BlockGemmPipelineVersionE2ES6_S6_Lb0ELb0ELi0EEELb1ELNS_25InMemoryDataOperationEnumE1ELi1ELNS_10TailNumberE1EEEvNT_8ArgumentE,"axG",@progbits,_ZN2ck45kernel_gemm_xdl_cshuffle_v3_b_preshuffle_2ldsINS_41GridwiseGemm_xdl_cshuffle_v3_b_preshuffleINS_13tensor_layout4gemm8RowMajorENS3_11ColumnMajorES4_NS_9f8_fnuz_tENS_7pk_i4_tEfDF16_DF16_NS_16tensor_operation12element_wise11PassThroughESA_SA_LNS8_6device18GemmSpecializationE0ELi256ELi256ELi256ELi128ELi16ELi32ELi16ELi16ELi8ELi4ENS_8SequenceIJLi8ELi32ELi1EEEENSD_IJLi1ELi0ELi2EEEESF_Li2ELi16ELi16ELb0ELi0ENSD_IJLi4ELi64ELi1EEEESF_SF_Li2ELi32ELi32ELb0ELi0ELi1ELi1ENSD_IJLi1ELi32ELi1ELi8EEEELi4ELNS_26BlockGemmPipelineSchedulerE0ELNS_24BlockGemmPipelineVersionE2ES6_S6_Lb0ELb0ELi0EEELb1ELNS_25InMemoryDataOperationEnumE1ELi1ELNS_10TailNumberE1EEEvNT_8ArgumentE,comdat
.Lfunc_end9:
	.size	_ZN2ck45kernel_gemm_xdl_cshuffle_v3_b_preshuffle_2ldsINS_41GridwiseGemm_xdl_cshuffle_v3_b_preshuffleINS_13tensor_layout4gemm8RowMajorENS3_11ColumnMajorES4_NS_9f8_fnuz_tENS_7pk_i4_tEfDF16_DF16_NS_16tensor_operation12element_wise11PassThroughESA_SA_LNS8_6device18GemmSpecializationE0ELi256ELi256ELi256ELi128ELi16ELi32ELi16ELi16ELi8ELi4ENS_8SequenceIJLi8ELi32ELi1EEEENSD_IJLi1ELi0ELi2EEEESF_Li2ELi16ELi16ELb0ELi0ENSD_IJLi4ELi64ELi1EEEESF_SF_Li2ELi32ELi32ELb0ELi0ELi1ELi1ENSD_IJLi1ELi32ELi1ELi8EEEELi4ELNS_26BlockGemmPipelineSchedulerE0ELNS_24BlockGemmPipelineVersionE2ES6_S6_Lb0ELb0ELi0EEELb1ELNS_25InMemoryDataOperationEnumE1ELi1ELNS_10TailNumberE1EEEvNT_8ArgumentE, .Lfunc_end9-_ZN2ck45kernel_gemm_xdl_cshuffle_v3_b_preshuffle_2ldsINS_41GridwiseGemm_xdl_cshuffle_v3_b_preshuffleINS_13tensor_layout4gemm8RowMajorENS3_11ColumnMajorES4_NS_9f8_fnuz_tENS_7pk_i4_tEfDF16_DF16_NS_16tensor_operation12element_wise11PassThroughESA_SA_LNS8_6device18GemmSpecializationE0ELi256ELi256ELi256ELi128ELi16ELi32ELi16ELi16ELi8ELi4ENS_8SequenceIJLi8ELi32ELi1EEEENSD_IJLi1ELi0ELi2EEEESF_Li2ELi16ELi16ELb0ELi0ENSD_IJLi4ELi64ELi1EEEESF_SF_Li2ELi32ELi32ELb0ELi0ELi1ELi1ENSD_IJLi1ELi32ELi1ELi8EEEELi4ELNS_26BlockGemmPipelineSchedulerE0ELNS_24BlockGemmPipelineVersionE2ES6_S6_Lb0ELb0ELi0EEELb1ELNS_25InMemoryDataOperationEnumE1ELi1ELNS_10TailNumberE1EEEvNT_8ArgumentE
                                        ; -- End function
	.set _ZN2ck45kernel_gemm_xdl_cshuffle_v3_b_preshuffle_2ldsINS_41GridwiseGemm_xdl_cshuffle_v3_b_preshuffleINS_13tensor_layout4gemm8RowMajorENS3_11ColumnMajorES4_NS_9f8_fnuz_tENS_7pk_i4_tEfDF16_DF16_NS_16tensor_operation12element_wise11PassThroughESA_SA_LNS8_6device18GemmSpecializationE0ELi256ELi256ELi256ELi128ELi16ELi32ELi16ELi16ELi8ELi4ENS_8SequenceIJLi8ELi32ELi1EEEENSD_IJLi1ELi0ELi2EEEESF_Li2ELi16ELi16ELb0ELi0ENSD_IJLi4ELi64ELi1EEEESF_SF_Li2ELi32ELi32ELb0ELi0ELi1ELi1ENSD_IJLi1ELi32ELi1ELi8EEEELi4ELNS_26BlockGemmPipelineSchedulerE0ELNS_24BlockGemmPipelineVersionE2ES6_S6_Lb0ELb0ELi0EEELb1ELNS_25InMemoryDataOperationEnumE1ELi1ELNS_10TailNumberE1EEEvNT_8ArgumentE.num_vgpr, max(46, .L_ZNK2ck52BlockwiseGemmXdlops_pipeline_bpreshuffle_bdequant_v3ILNS_26BlockGemmPipelineSchedulerE0ELi256ENS_9f8_fnuz_tENS_7pk_i4_tES2_fNS_16TensorDescriptorINS_5TupleIJNS_5EmbedINS5_IJNS_17integral_constantIiLi8EEENS7_IiLi256EEENS7_IiLi16EEEEEENS5_IJSA_NS7_IiLi128EEENS7_IiLi1EEEEEELb0EEENS_3XorINS5_IJS9_S8_EEELb1EEENS_11PassThroughISA_EENS_7UnMergeINS5_IJS8_SD_EEELb0EEENSJ_IS9_EESK_NSJ_IS8_EENS_21Merge_v3_division_modINS5_IJS9_SD_EEEEESK_EEENS5_IJNS_8SequenceIJLi0EEEENSU_IJLi2ELi1EEEENSU_IJLi3EEEENSU_IJLi5EEEENSU_IJLi4EEEENSU_IJLi6EEEENSU_IJLi7EEEENSU_IJLi9ELi8EEEENSU_IJLi10EEEEEEENS5_IJNSU_IJLi1ELi2ELi3EEEENSU_IJLi4ELi5EEEES10_NSU_IJLi7ELi8EEEENSU_IJLi9EEEES13_NSU_IJLi11EEEENSU_IJLi12EEEENSU_IJLi13EEEEEEENSU_IJLi11ELi12ELi13EEEENS7_IlLl32768EEEEENS4_INS5_IJNSL_INS5_IJNS7_IiLi4EEESD_NS7_IiLi2EEENS7_IiLi32EEEEEELb0EEEEEENS5_IJSV_EEENS5_IJNSU_IJLi1ELi2ELi3ELi4EEEEEEES1N_NS7_IlLl256EEEEENS4_INS5_IJSF_SI_SK_SN_SO_SK_SP_SS_SK_NSQ_INS5_IJS8_SA_EEEEENSL_INS5_IJS8_S1H_SA_EEELb0EEEEEENS5_IJSV_SW_SX_SY_SZ_S10_S11_S12_S13_NSU_IJLi11ELi13EEEES1A_EEENS5_IJS15_S16_S10_S17_S18_S13_S19_S1A_S1B_NSU_IJLi14EEEENSU_IJLi15ELi16ELi17EEEEEEENSU_IJLi15ELi16ELi17ELi14EEEES1E_EENS4_INS5_IJS1K_NSQ_INS5_IJS1G_S1H_EEEEENSL_INS5_IJS1G_S1G_SA_EEELb0EEEEEENS5_IJSV_NSU_IJLi1ELi3EEEENSU_IJLi2EEEEEEENS5_IJS1N_SY_NSU_IJLi6ELi7ELi8EEEEEEENSU_IJLi6ELi7ELi8ELi5EEEES1P_EELi16ELi32ELi256ELi256ELi128ELi16ELi16ELi8ELi4ELi32ELb0EE3RunILb1ELNS_10TailNumberE1ENS4_INS5_IJNS6_INS5_IJiiEEENS5_IJiSD_EEELb0EEENSL_IS2I_Lb0EEENSJ_IiEEEEENS5_IJSV_S29_NSU_IJLi1EEEEEEENS5_IJNSU_IJLi1ELi2EEEENSU_IJLi3ELi4EEEESY_EEENSU_IJLi3ELi5ELi4EEEElEES1F_NS_35ThreadGroupTensorSliceTransfer_v4r1INS_15ThisThreadBlockILi256EEENS_16tensor_operation12element_wise11PassThroughES30_LNS_25InMemoryDataOperationEnumE0ENSU_IJLi8ELi256ELi16EEEENSU_IJLi8ELi32ELi1EEEENSU_IJLi1ELi0ELi2EEEES2_S2_RKS2U_KS1F_S34_NSU_IJLi0ELi1ELi2EEEELi2ELi2ELi16ELi16ELi1ELi1ELb0ELb1ELi2EiEENS_13DynamicBufferILNS_16AddressSpaceEnumE1EKS2_lLb1ELNS_22AmdBufferCoherenceEnumE0EiEENS5_IJNS3A_ILS3B_2ES2_S1E_Lb1ELS3D_0EiEES3F_EEENS5_IJiiiEEENS4_INS5_IJNS6_INS5_IJiiiiEEENS5_IJiiiSD_EEELb0EEEEEES1M_S1O_S1N_lEENS_32ThreadwiseTensorSliceTransfer_v2IS3_S3_RKS3M_KS1Q_NSU_IJLi4ELi1ELi2ELi32EEEENSU_IJLi1ELi2ELi0ELi3EEEELi3ELi32ELi0ELb1ELb0ELb0EEENS3A_ILS3B_1EKS3_lLb1ELS3D_0EiEENS5_IJNS_12StaticBufferILS3B_4ES3_Li256ELb1EEES3X_EEES3I_NS_25StaticBufferTupleOfVectorILS3B_4EfLi32ELi8ELb1ELb0EEEEEvRKT1_RKT2_RT3_RKT4_RT5_RKT6_RKT7_RT8_RKT9_RT10_RKT11_RT12_i.num_vgpr)
	.set _ZN2ck45kernel_gemm_xdl_cshuffle_v3_b_preshuffle_2ldsINS_41GridwiseGemm_xdl_cshuffle_v3_b_preshuffleINS_13tensor_layout4gemm8RowMajorENS3_11ColumnMajorES4_NS_9f8_fnuz_tENS_7pk_i4_tEfDF16_DF16_NS_16tensor_operation12element_wise11PassThroughESA_SA_LNS8_6device18GemmSpecializationE0ELi256ELi256ELi256ELi128ELi16ELi32ELi16ELi16ELi8ELi4ENS_8SequenceIJLi8ELi32ELi1EEEENSD_IJLi1ELi0ELi2EEEESF_Li2ELi16ELi16ELb0ELi0ENSD_IJLi4ELi64ELi1EEEESF_SF_Li2ELi32ELi32ELb0ELi0ELi1ELi1ENSD_IJLi1ELi32ELi1ELi8EEEELi4ELNS_26BlockGemmPipelineSchedulerE0ELNS_24BlockGemmPipelineVersionE2ES6_S6_Lb0ELb0ELi0EEELb1ELNS_25InMemoryDataOperationEnumE1ELi1ELNS_10TailNumberE1EEEvNT_8ArgumentE.num_agpr, max(0, .L_ZNK2ck52BlockwiseGemmXdlops_pipeline_bpreshuffle_bdequant_v3ILNS_26BlockGemmPipelineSchedulerE0ELi256ENS_9f8_fnuz_tENS_7pk_i4_tES2_fNS_16TensorDescriptorINS_5TupleIJNS_5EmbedINS5_IJNS_17integral_constantIiLi8EEENS7_IiLi256EEENS7_IiLi16EEEEEENS5_IJSA_NS7_IiLi128EEENS7_IiLi1EEEEEELb0EEENS_3XorINS5_IJS9_S8_EEELb1EEENS_11PassThroughISA_EENS_7UnMergeINS5_IJS8_SD_EEELb0EEENSJ_IS9_EESK_NSJ_IS8_EENS_21Merge_v3_division_modINS5_IJS9_SD_EEEEESK_EEENS5_IJNS_8SequenceIJLi0EEEENSU_IJLi2ELi1EEEENSU_IJLi3EEEENSU_IJLi5EEEENSU_IJLi4EEEENSU_IJLi6EEEENSU_IJLi7EEEENSU_IJLi9ELi8EEEENSU_IJLi10EEEEEEENS5_IJNSU_IJLi1ELi2ELi3EEEENSU_IJLi4ELi5EEEES10_NSU_IJLi7ELi8EEEENSU_IJLi9EEEES13_NSU_IJLi11EEEENSU_IJLi12EEEENSU_IJLi13EEEEEEENSU_IJLi11ELi12ELi13EEEENS7_IlLl32768EEEEENS4_INS5_IJNSL_INS5_IJNS7_IiLi4EEESD_NS7_IiLi2EEENS7_IiLi32EEEEEELb0EEEEEENS5_IJSV_EEENS5_IJNSU_IJLi1ELi2ELi3ELi4EEEEEEES1N_NS7_IlLl256EEEEENS4_INS5_IJSF_SI_SK_SN_SO_SK_SP_SS_SK_NSQ_INS5_IJS8_SA_EEEEENSL_INS5_IJS8_S1H_SA_EEELb0EEEEEENS5_IJSV_SW_SX_SY_SZ_S10_S11_S12_S13_NSU_IJLi11ELi13EEEES1A_EEENS5_IJS15_S16_S10_S17_S18_S13_S19_S1A_S1B_NSU_IJLi14EEEENSU_IJLi15ELi16ELi17EEEEEEENSU_IJLi15ELi16ELi17ELi14EEEES1E_EENS4_INS5_IJS1K_NSQ_INS5_IJS1G_S1H_EEEEENSL_INS5_IJS1G_S1G_SA_EEELb0EEEEEENS5_IJSV_NSU_IJLi1ELi3EEEENSU_IJLi2EEEEEEENS5_IJS1N_SY_NSU_IJLi6ELi7ELi8EEEEEEENSU_IJLi6ELi7ELi8ELi5EEEES1P_EELi16ELi32ELi256ELi256ELi128ELi16ELi16ELi8ELi4ELi32ELb0EE3RunILb1ELNS_10TailNumberE1ENS4_INS5_IJNS6_INS5_IJiiEEENS5_IJiSD_EEELb0EEENSL_IS2I_Lb0EEENSJ_IiEEEEENS5_IJSV_S29_NSU_IJLi1EEEEEEENS5_IJNSU_IJLi1ELi2EEEENSU_IJLi3ELi4EEEESY_EEENSU_IJLi3ELi5ELi4EEEElEES1F_NS_35ThreadGroupTensorSliceTransfer_v4r1INS_15ThisThreadBlockILi256EEENS_16tensor_operation12element_wise11PassThroughES30_LNS_25InMemoryDataOperationEnumE0ENSU_IJLi8ELi256ELi16EEEENSU_IJLi8ELi32ELi1EEEENSU_IJLi1ELi0ELi2EEEES2_S2_RKS2U_KS1F_S34_NSU_IJLi0ELi1ELi2EEEELi2ELi2ELi16ELi16ELi1ELi1ELb0ELb1ELi2EiEENS_13DynamicBufferILNS_16AddressSpaceEnumE1EKS2_lLb1ELNS_22AmdBufferCoherenceEnumE0EiEENS5_IJNS3A_ILS3B_2ES2_S1E_Lb1ELS3D_0EiEES3F_EEENS5_IJiiiEEENS4_INS5_IJNS6_INS5_IJiiiiEEENS5_IJiiiSD_EEELb0EEEEEES1M_S1O_S1N_lEENS_32ThreadwiseTensorSliceTransfer_v2IS3_S3_RKS3M_KS1Q_NSU_IJLi4ELi1ELi2ELi32EEEENSU_IJLi1ELi2ELi0ELi3EEEELi3ELi32ELi0ELb1ELb0ELb0EEENS3A_ILS3B_1EKS3_lLb1ELS3D_0EiEENS5_IJNS_12StaticBufferILS3B_4ES3_Li256ELb1EEES3X_EEES3I_NS_25StaticBufferTupleOfVectorILS3B_4EfLi32ELi8ELb1ELb0EEEEEvRKT1_RKT2_RT3_RKT4_RT5_RKT6_RKT7_RT8_RKT9_RT10_RKT11_RT12_i.num_agpr)
	.set _ZN2ck45kernel_gemm_xdl_cshuffle_v3_b_preshuffle_2ldsINS_41GridwiseGemm_xdl_cshuffle_v3_b_preshuffleINS_13tensor_layout4gemm8RowMajorENS3_11ColumnMajorES4_NS_9f8_fnuz_tENS_7pk_i4_tEfDF16_DF16_NS_16tensor_operation12element_wise11PassThroughESA_SA_LNS8_6device18GemmSpecializationE0ELi256ELi256ELi256ELi128ELi16ELi32ELi16ELi16ELi8ELi4ENS_8SequenceIJLi8ELi32ELi1EEEENSD_IJLi1ELi0ELi2EEEESF_Li2ELi16ELi16ELb0ELi0ENSD_IJLi4ELi64ELi1EEEESF_SF_Li2ELi32ELi32ELb0ELi0ELi1ELi1ENSD_IJLi1ELi32ELi1ELi8EEEELi4ELNS_26BlockGemmPipelineSchedulerE0ELNS_24BlockGemmPipelineVersionE2ES6_S6_Lb0ELb0ELi0EEELb1ELNS_25InMemoryDataOperationEnumE1ELi1ELNS_10TailNumberE1EEEvNT_8ArgumentE.numbered_sgpr, max(33, .L_ZNK2ck52BlockwiseGemmXdlops_pipeline_bpreshuffle_bdequant_v3ILNS_26BlockGemmPipelineSchedulerE0ELi256ENS_9f8_fnuz_tENS_7pk_i4_tES2_fNS_16TensorDescriptorINS_5TupleIJNS_5EmbedINS5_IJNS_17integral_constantIiLi8EEENS7_IiLi256EEENS7_IiLi16EEEEEENS5_IJSA_NS7_IiLi128EEENS7_IiLi1EEEEEELb0EEENS_3XorINS5_IJS9_S8_EEELb1EEENS_11PassThroughISA_EENS_7UnMergeINS5_IJS8_SD_EEELb0EEENSJ_IS9_EESK_NSJ_IS8_EENS_21Merge_v3_division_modINS5_IJS9_SD_EEEEESK_EEENS5_IJNS_8SequenceIJLi0EEEENSU_IJLi2ELi1EEEENSU_IJLi3EEEENSU_IJLi5EEEENSU_IJLi4EEEENSU_IJLi6EEEENSU_IJLi7EEEENSU_IJLi9ELi8EEEENSU_IJLi10EEEEEEENS5_IJNSU_IJLi1ELi2ELi3EEEENSU_IJLi4ELi5EEEES10_NSU_IJLi7ELi8EEEENSU_IJLi9EEEES13_NSU_IJLi11EEEENSU_IJLi12EEEENSU_IJLi13EEEEEEENSU_IJLi11ELi12ELi13EEEENS7_IlLl32768EEEEENS4_INS5_IJNSL_INS5_IJNS7_IiLi4EEESD_NS7_IiLi2EEENS7_IiLi32EEEEEELb0EEEEEENS5_IJSV_EEENS5_IJNSU_IJLi1ELi2ELi3ELi4EEEEEEES1N_NS7_IlLl256EEEEENS4_INS5_IJSF_SI_SK_SN_SO_SK_SP_SS_SK_NSQ_INS5_IJS8_SA_EEEEENSL_INS5_IJS8_S1H_SA_EEELb0EEEEEENS5_IJSV_SW_SX_SY_SZ_S10_S11_S12_S13_NSU_IJLi11ELi13EEEES1A_EEENS5_IJS15_S16_S10_S17_S18_S13_S19_S1A_S1B_NSU_IJLi14EEEENSU_IJLi15ELi16ELi17EEEEEEENSU_IJLi15ELi16ELi17ELi14EEEES1E_EENS4_INS5_IJS1K_NSQ_INS5_IJS1G_S1H_EEEEENSL_INS5_IJS1G_S1G_SA_EEELb0EEEEEENS5_IJSV_NSU_IJLi1ELi3EEEENSU_IJLi2EEEEEEENS5_IJS1N_SY_NSU_IJLi6ELi7ELi8EEEEEEENSU_IJLi6ELi7ELi8ELi5EEEES1P_EELi16ELi32ELi256ELi256ELi128ELi16ELi16ELi8ELi4ELi32ELb0EE3RunILb1ELNS_10TailNumberE1ENS4_INS5_IJNS6_INS5_IJiiEEENS5_IJiSD_EEELb0EEENSL_IS2I_Lb0EEENSJ_IiEEEEENS5_IJSV_S29_NSU_IJLi1EEEEEEENS5_IJNSU_IJLi1ELi2EEEENSU_IJLi3ELi4EEEESY_EEENSU_IJLi3ELi5ELi4EEEElEES1F_NS_35ThreadGroupTensorSliceTransfer_v4r1INS_15ThisThreadBlockILi256EEENS_16tensor_operation12element_wise11PassThroughES30_LNS_25InMemoryDataOperationEnumE0ENSU_IJLi8ELi256ELi16EEEENSU_IJLi8ELi32ELi1EEEENSU_IJLi1ELi0ELi2EEEES2_S2_RKS2U_KS1F_S34_NSU_IJLi0ELi1ELi2EEEELi2ELi2ELi16ELi16ELi1ELi1ELb0ELb1ELi2EiEENS_13DynamicBufferILNS_16AddressSpaceEnumE1EKS2_lLb1ELNS_22AmdBufferCoherenceEnumE0EiEENS5_IJNS3A_ILS3B_2ES2_S1E_Lb1ELS3D_0EiEES3F_EEENS5_IJiiiEEENS4_INS5_IJNS6_INS5_IJiiiiEEENS5_IJiiiSD_EEELb0EEEEEES1M_S1O_S1N_lEENS_32ThreadwiseTensorSliceTransfer_v2IS3_S3_RKS3M_KS1Q_NSU_IJLi4ELi1ELi2ELi32EEEENSU_IJLi1ELi2ELi0ELi3EEEELi3ELi32ELi0ELb1ELb0ELb0EEENS3A_ILS3B_1EKS3_lLb1ELS3D_0EiEENS5_IJNS_12StaticBufferILS3B_4ES3_Li256ELb1EEES3X_EEES3I_NS_25StaticBufferTupleOfVectorILS3B_4EfLi32ELi8ELb1ELb0EEEEEvRKT1_RKT2_RT3_RKT4_RT5_RKT6_RKT7_RT8_RKT9_RT10_RKT11_RT12_i.numbered_sgpr)
	.set _ZN2ck45kernel_gemm_xdl_cshuffle_v3_b_preshuffle_2ldsINS_41GridwiseGemm_xdl_cshuffle_v3_b_preshuffleINS_13tensor_layout4gemm8RowMajorENS3_11ColumnMajorES4_NS_9f8_fnuz_tENS_7pk_i4_tEfDF16_DF16_NS_16tensor_operation12element_wise11PassThroughESA_SA_LNS8_6device18GemmSpecializationE0ELi256ELi256ELi256ELi128ELi16ELi32ELi16ELi16ELi8ELi4ENS_8SequenceIJLi8ELi32ELi1EEEENSD_IJLi1ELi0ELi2EEEESF_Li2ELi16ELi16ELb0ELi0ENSD_IJLi4ELi64ELi1EEEESF_SF_Li2ELi32ELi32ELb0ELi0ELi1ELi1ENSD_IJLi1ELi32ELi1ELi8EEEELi4ELNS_26BlockGemmPipelineSchedulerE0ELNS_24BlockGemmPipelineVersionE2ES6_S6_Lb0ELb0ELi0EEELb1ELNS_25InMemoryDataOperationEnumE1ELi1ELNS_10TailNumberE1EEEvNT_8ArgumentE.num_named_barrier, max(0, .L_ZNK2ck52BlockwiseGemmXdlops_pipeline_bpreshuffle_bdequant_v3ILNS_26BlockGemmPipelineSchedulerE0ELi256ENS_9f8_fnuz_tENS_7pk_i4_tES2_fNS_16TensorDescriptorINS_5TupleIJNS_5EmbedINS5_IJNS_17integral_constantIiLi8EEENS7_IiLi256EEENS7_IiLi16EEEEEENS5_IJSA_NS7_IiLi128EEENS7_IiLi1EEEEEELb0EEENS_3XorINS5_IJS9_S8_EEELb1EEENS_11PassThroughISA_EENS_7UnMergeINS5_IJS8_SD_EEELb0EEENSJ_IS9_EESK_NSJ_IS8_EENS_21Merge_v3_division_modINS5_IJS9_SD_EEEEESK_EEENS5_IJNS_8SequenceIJLi0EEEENSU_IJLi2ELi1EEEENSU_IJLi3EEEENSU_IJLi5EEEENSU_IJLi4EEEENSU_IJLi6EEEENSU_IJLi7EEEENSU_IJLi9ELi8EEEENSU_IJLi10EEEEEEENS5_IJNSU_IJLi1ELi2ELi3EEEENSU_IJLi4ELi5EEEES10_NSU_IJLi7ELi8EEEENSU_IJLi9EEEES13_NSU_IJLi11EEEENSU_IJLi12EEEENSU_IJLi13EEEEEEENSU_IJLi11ELi12ELi13EEEENS7_IlLl32768EEEEENS4_INS5_IJNSL_INS5_IJNS7_IiLi4EEESD_NS7_IiLi2EEENS7_IiLi32EEEEEELb0EEEEEENS5_IJSV_EEENS5_IJNSU_IJLi1ELi2ELi3ELi4EEEEEEES1N_NS7_IlLl256EEEEENS4_INS5_IJSF_SI_SK_SN_SO_SK_SP_SS_SK_NSQ_INS5_IJS8_SA_EEEEENSL_INS5_IJS8_S1H_SA_EEELb0EEEEEENS5_IJSV_SW_SX_SY_SZ_S10_S11_S12_S13_NSU_IJLi11ELi13EEEES1A_EEENS5_IJS15_S16_S10_S17_S18_S13_S19_S1A_S1B_NSU_IJLi14EEEENSU_IJLi15ELi16ELi17EEEEEEENSU_IJLi15ELi16ELi17ELi14EEEES1E_EENS4_INS5_IJS1K_NSQ_INS5_IJS1G_S1H_EEEEENSL_INS5_IJS1G_S1G_SA_EEELb0EEEEEENS5_IJSV_NSU_IJLi1ELi3EEEENSU_IJLi2EEEEEEENS5_IJS1N_SY_NSU_IJLi6ELi7ELi8EEEEEEENSU_IJLi6ELi7ELi8ELi5EEEES1P_EELi16ELi32ELi256ELi256ELi128ELi16ELi16ELi8ELi4ELi32ELb0EE3RunILb1ELNS_10TailNumberE1ENS4_INS5_IJNS6_INS5_IJiiEEENS5_IJiSD_EEELb0EEENSL_IS2I_Lb0EEENSJ_IiEEEEENS5_IJSV_S29_NSU_IJLi1EEEEEEENS5_IJNSU_IJLi1ELi2EEEENSU_IJLi3ELi4EEEESY_EEENSU_IJLi3ELi5ELi4EEEElEES1F_NS_35ThreadGroupTensorSliceTransfer_v4r1INS_15ThisThreadBlockILi256EEENS_16tensor_operation12element_wise11PassThroughES30_LNS_25InMemoryDataOperationEnumE0ENSU_IJLi8ELi256ELi16EEEENSU_IJLi8ELi32ELi1EEEENSU_IJLi1ELi0ELi2EEEES2_S2_RKS2U_KS1F_S34_NSU_IJLi0ELi1ELi2EEEELi2ELi2ELi16ELi16ELi1ELi1ELb0ELb1ELi2EiEENS_13DynamicBufferILNS_16AddressSpaceEnumE1EKS2_lLb1ELNS_22AmdBufferCoherenceEnumE0EiEENS5_IJNS3A_ILS3B_2ES2_S1E_Lb1ELS3D_0EiEES3F_EEENS5_IJiiiEEENS4_INS5_IJNS6_INS5_IJiiiiEEENS5_IJiiiSD_EEELb0EEEEEES1M_S1O_S1N_lEENS_32ThreadwiseTensorSliceTransfer_v2IS3_S3_RKS3M_KS1Q_NSU_IJLi4ELi1ELi2ELi32EEEENSU_IJLi1ELi2ELi0ELi3EEEELi3ELi32ELi0ELb1ELb0ELb0EEENS3A_ILS3B_1EKS3_lLb1ELS3D_0EiEENS5_IJNS_12StaticBufferILS3B_4ES3_Li256ELb1EEES3X_EEES3I_NS_25StaticBufferTupleOfVectorILS3B_4EfLi32ELi8ELb1ELb0EEEEEvRKT1_RKT2_RT3_RKT4_RT5_RKT6_RKT7_RT8_RKT9_RT10_RKT11_RT12_i.num_named_barrier)
	.set _ZN2ck45kernel_gemm_xdl_cshuffle_v3_b_preshuffle_2ldsINS_41GridwiseGemm_xdl_cshuffle_v3_b_preshuffleINS_13tensor_layout4gemm8RowMajorENS3_11ColumnMajorES4_NS_9f8_fnuz_tENS_7pk_i4_tEfDF16_DF16_NS_16tensor_operation12element_wise11PassThroughESA_SA_LNS8_6device18GemmSpecializationE0ELi256ELi256ELi256ELi128ELi16ELi32ELi16ELi16ELi8ELi4ENS_8SequenceIJLi8ELi32ELi1EEEENSD_IJLi1ELi0ELi2EEEESF_Li2ELi16ELi16ELb0ELi0ENSD_IJLi4ELi64ELi1EEEESF_SF_Li2ELi32ELi32ELb0ELi0ELi1ELi1ENSD_IJLi1ELi32ELi1ELi8EEEELi4ELNS_26BlockGemmPipelineSchedulerE0ELNS_24BlockGemmPipelineVersionE2ES6_S6_Lb0ELb0ELi0EEELb1ELNS_25InMemoryDataOperationEnumE1ELi1ELNS_10TailNumberE1EEEvNT_8ArgumentE.private_seg_size, 3360+max(.L_ZNK2ck52BlockwiseGemmXdlops_pipeline_bpreshuffle_bdequant_v3ILNS_26BlockGemmPipelineSchedulerE0ELi256ENS_9f8_fnuz_tENS_7pk_i4_tES2_fNS_16TensorDescriptorINS_5TupleIJNS_5EmbedINS5_IJNS_17integral_constantIiLi8EEENS7_IiLi256EEENS7_IiLi16EEEEEENS5_IJSA_NS7_IiLi128EEENS7_IiLi1EEEEEELb0EEENS_3XorINS5_IJS9_S8_EEELb1EEENS_11PassThroughISA_EENS_7UnMergeINS5_IJS8_SD_EEELb0EEENSJ_IS9_EESK_NSJ_IS8_EENS_21Merge_v3_division_modINS5_IJS9_SD_EEEEESK_EEENS5_IJNS_8SequenceIJLi0EEEENSU_IJLi2ELi1EEEENSU_IJLi3EEEENSU_IJLi5EEEENSU_IJLi4EEEENSU_IJLi6EEEENSU_IJLi7EEEENSU_IJLi9ELi8EEEENSU_IJLi10EEEEEEENS5_IJNSU_IJLi1ELi2ELi3EEEENSU_IJLi4ELi5EEEES10_NSU_IJLi7ELi8EEEENSU_IJLi9EEEES13_NSU_IJLi11EEEENSU_IJLi12EEEENSU_IJLi13EEEEEEENSU_IJLi11ELi12ELi13EEEENS7_IlLl32768EEEEENS4_INS5_IJNSL_INS5_IJNS7_IiLi4EEESD_NS7_IiLi2EEENS7_IiLi32EEEEEELb0EEEEEENS5_IJSV_EEENS5_IJNSU_IJLi1ELi2ELi3ELi4EEEEEEES1N_NS7_IlLl256EEEEENS4_INS5_IJSF_SI_SK_SN_SO_SK_SP_SS_SK_NSQ_INS5_IJS8_SA_EEEEENSL_INS5_IJS8_S1H_SA_EEELb0EEEEEENS5_IJSV_SW_SX_SY_SZ_S10_S11_S12_S13_NSU_IJLi11ELi13EEEES1A_EEENS5_IJS15_S16_S10_S17_S18_S13_S19_S1A_S1B_NSU_IJLi14EEEENSU_IJLi15ELi16ELi17EEEEEEENSU_IJLi15ELi16ELi17ELi14EEEES1E_EENS4_INS5_IJS1K_NSQ_INS5_IJS1G_S1H_EEEEENSL_INS5_IJS1G_S1G_SA_EEELb0EEEEEENS5_IJSV_NSU_IJLi1ELi3EEEENSU_IJLi2EEEEEEENS5_IJS1N_SY_NSU_IJLi6ELi7ELi8EEEEEEENSU_IJLi6ELi7ELi8ELi5EEEES1P_EELi16ELi32ELi256ELi256ELi128ELi16ELi16ELi8ELi4ELi32ELb0EE3RunILb1ELNS_10TailNumberE1ENS4_INS5_IJNS6_INS5_IJiiEEENS5_IJiSD_EEELb0EEENSL_IS2I_Lb0EEENSJ_IiEEEEENS5_IJSV_S29_NSU_IJLi1EEEEEEENS5_IJNSU_IJLi1ELi2EEEENSU_IJLi3ELi4EEEESY_EEENSU_IJLi3ELi5ELi4EEEElEES1F_NS_35ThreadGroupTensorSliceTransfer_v4r1INS_15ThisThreadBlockILi256EEENS_16tensor_operation12element_wise11PassThroughES30_LNS_25InMemoryDataOperationEnumE0ENSU_IJLi8ELi256ELi16EEEENSU_IJLi8ELi32ELi1EEEENSU_IJLi1ELi0ELi2EEEES2_S2_RKS2U_KS1F_S34_NSU_IJLi0ELi1ELi2EEEELi2ELi2ELi16ELi16ELi1ELi1ELb0ELb1ELi2EiEENS_13DynamicBufferILNS_16AddressSpaceEnumE1EKS2_lLb1ELNS_22AmdBufferCoherenceEnumE0EiEENS5_IJNS3A_ILS3B_2ES2_S1E_Lb1ELS3D_0EiEES3F_EEENS5_IJiiiEEENS4_INS5_IJNS6_INS5_IJiiiiEEENS5_IJiiiSD_EEELb0EEEEEES1M_S1O_S1N_lEENS_32ThreadwiseTensorSliceTransfer_v2IS3_S3_RKS3M_KS1Q_NSU_IJLi4ELi1ELi2ELi32EEEENSU_IJLi1ELi2ELi0ELi3EEEELi3ELi32ELi0ELb1ELb0ELb0EEENS3A_ILS3B_1EKS3_lLb1ELS3D_0EiEENS5_IJNS_12StaticBufferILS3B_4ES3_Li256ELb1EEES3X_EEES3I_NS_25StaticBufferTupleOfVectorILS3B_4EfLi32ELi8ELb1ELb0EEEEEvRKT1_RKT2_RT3_RKT4_RT5_RKT6_RKT7_RT8_RKT9_RT10_RKT11_RT12_i.private_seg_size)
	.set _ZN2ck45kernel_gemm_xdl_cshuffle_v3_b_preshuffle_2ldsINS_41GridwiseGemm_xdl_cshuffle_v3_b_preshuffleINS_13tensor_layout4gemm8RowMajorENS3_11ColumnMajorES4_NS_9f8_fnuz_tENS_7pk_i4_tEfDF16_DF16_NS_16tensor_operation12element_wise11PassThroughESA_SA_LNS8_6device18GemmSpecializationE0ELi256ELi256ELi256ELi128ELi16ELi32ELi16ELi16ELi8ELi4ENS_8SequenceIJLi8ELi32ELi1EEEENSD_IJLi1ELi0ELi2EEEESF_Li2ELi16ELi16ELb0ELi0ENSD_IJLi4ELi64ELi1EEEESF_SF_Li2ELi32ELi32ELb0ELi0ELi1ELi1ENSD_IJLi1ELi32ELi1ELi8EEEELi4ELNS_26BlockGemmPipelineSchedulerE0ELNS_24BlockGemmPipelineVersionE2ES6_S6_Lb0ELb0ELi0EEELb1ELNS_25InMemoryDataOperationEnumE1ELi1ELNS_10TailNumberE1EEEvNT_8ArgumentE.uses_vcc, or(1, .L_ZNK2ck52BlockwiseGemmXdlops_pipeline_bpreshuffle_bdequant_v3ILNS_26BlockGemmPipelineSchedulerE0ELi256ENS_9f8_fnuz_tENS_7pk_i4_tES2_fNS_16TensorDescriptorINS_5TupleIJNS_5EmbedINS5_IJNS_17integral_constantIiLi8EEENS7_IiLi256EEENS7_IiLi16EEEEEENS5_IJSA_NS7_IiLi128EEENS7_IiLi1EEEEEELb0EEENS_3XorINS5_IJS9_S8_EEELb1EEENS_11PassThroughISA_EENS_7UnMergeINS5_IJS8_SD_EEELb0EEENSJ_IS9_EESK_NSJ_IS8_EENS_21Merge_v3_division_modINS5_IJS9_SD_EEEEESK_EEENS5_IJNS_8SequenceIJLi0EEEENSU_IJLi2ELi1EEEENSU_IJLi3EEEENSU_IJLi5EEEENSU_IJLi4EEEENSU_IJLi6EEEENSU_IJLi7EEEENSU_IJLi9ELi8EEEENSU_IJLi10EEEEEEENS5_IJNSU_IJLi1ELi2ELi3EEEENSU_IJLi4ELi5EEEES10_NSU_IJLi7ELi8EEEENSU_IJLi9EEEES13_NSU_IJLi11EEEENSU_IJLi12EEEENSU_IJLi13EEEEEEENSU_IJLi11ELi12ELi13EEEENS7_IlLl32768EEEEENS4_INS5_IJNSL_INS5_IJNS7_IiLi4EEESD_NS7_IiLi2EEENS7_IiLi32EEEEEELb0EEEEEENS5_IJSV_EEENS5_IJNSU_IJLi1ELi2ELi3ELi4EEEEEEES1N_NS7_IlLl256EEEEENS4_INS5_IJSF_SI_SK_SN_SO_SK_SP_SS_SK_NSQ_INS5_IJS8_SA_EEEEENSL_INS5_IJS8_S1H_SA_EEELb0EEEEEENS5_IJSV_SW_SX_SY_SZ_S10_S11_S12_S13_NSU_IJLi11ELi13EEEES1A_EEENS5_IJS15_S16_S10_S17_S18_S13_S19_S1A_S1B_NSU_IJLi14EEEENSU_IJLi15ELi16ELi17EEEEEEENSU_IJLi15ELi16ELi17ELi14EEEES1E_EENS4_INS5_IJS1K_NSQ_INS5_IJS1G_S1H_EEEEENSL_INS5_IJS1G_S1G_SA_EEELb0EEEEEENS5_IJSV_NSU_IJLi1ELi3EEEENSU_IJLi2EEEEEEENS5_IJS1N_SY_NSU_IJLi6ELi7ELi8EEEEEEENSU_IJLi6ELi7ELi8ELi5EEEES1P_EELi16ELi32ELi256ELi256ELi128ELi16ELi16ELi8ELi4ELi32ELb0EE3RunILb1ELNS_10TailNumberE1ENS4_INS5_IJNS6_INS5_IJiiEEENS5_IJiSD_EEELb0EEENSL_IS2I_Lb0EEENSJ_IiEEEEENS5_IJSV_S29_NSU_IJLi1EEEEEEENS5_IJNSU_IJLi1ELi2EEEENSU_IJLi3ELi4EEEESY_EEENSU_IJLi3ELi5ELi4EEEElEES1F_NS_35ThreadGroupTensorSliceTransfer_v4r1INS_15ThisThreadBlockILi256EEENS_16tensor_operation12element_wise11PassThroughES30_LNS_25InMemoryDataOperationEnumE0ENSU_IJLi8ELi256ELi16EEEENSU_IJLi8ELi32ELi1EEEENSU_IJLi1ELi0ELi2EEEES2_S2_RKS2U_KS1F_S34_NSU_IJLi0ELi1ELi2EEEELi2ELi2ELi16ELi16ELi1ELi1ELb0ELb1ELi2EiEENS_13DynamicBufferILNS_16AddressSpaceEnumE1EKS2_lLb1ELNS_22AmdBufferCoherenceEnumE0EiEENS5_IJNS3A_ILS3B_2ES2_S1E_Lb1ELS3D_0EiEES3F_EEENS5_IJiiiEEENS4_INS5_IJNS6_INS5_IJiiiiEEENS5_IJiiiSD_EEELb0EEEEEES1M_S1O_S1N_lEENS_32ThreadwiseTensorSliceTransfer_v2IS3_S3_RKS3M_KS1Q_NSU_IJLi4ELi1ELi2ELi32EEEENSU_IJLi1ELi2ELi0ELi3EEEELi3ELi32ELi0ELb1ELb0ELb0EEENS3A_ILS3B_1EKS3_lLb1ELS3D_0EiEENS5_IJNS_12StaticBufferILS3B_4ES3_Li256ELb1EEES3X_EEES3I_NS_25StaticBufferTupleOfVectorILS3B_4EfLi32ELi8ELb1ELb0EEEEEvRKT1_RKT2_RT3_RKT4_RT5_RKT6_RKT7_RT8_RKT9_RT10_RKT11_RT12_i.uses_vcc)
	.set _ZN2ck45kernel_gemm_xdl_cshuffle_v3_b_preshuffle_2ldsINS_41GridwiseGemm_xdl_cshuffle_v3_b_preshuffleINS_13tensor_layout4gemm8RowMajorENS3_11ColumnMajorES4_NS_9f8_fnuz_tENS_7pk_i4_tEfDF16_DF16_NS_16tensor_operation12element_wise11PassThroughESA_SA_LNS8_6device18GemmSpecializationE0ELi256ELi256ELi256ELi128ELi16ELi32ELi16ELi16ELi8ELi4ENS_8SequenceIJLi8ELi32ELi1EEEENSD_IJLi1ELi0ELi2EEEESF_Li2ELi16ELi16ELb0ELi0ENSD_IJLi4ELi64ELi1EEEESF_SF_Li2ELi32ELi32ELb0ELi0ELi1ELi1ENSD_IJLi1ELi32ELi1ELi8EEEELi4ELNS_26BlockGemmPipelineSchedulerE0ELNS_24BlockGemmPipelineVersionE2ES6_S6_Lb0ELb0ELi0EEELb1ELNS_25InMemoryDataOperationEnumE1ELi1ELNS_10TailNumberE1EEEvNT_8ArgumentE.uses_flat_scratch, or(1, .L_ZNK2ck52BlockwiseGemmXdlops_pipeline_bpreshuffle_bdequant_v3ILNS_26BlockGemmPipelineSchedulerE0ELi256ENS_9f8_fnuz_tENS_7pk_i4_tES2_fNS_16TensorDescriptorINS_5TupleIJNS_5EmbedINS5_IJNS_17integral_constantIiLi8EEENS7_IiLi256EEENS7_IiLi16EEEEEENS5_IJSA_NS7_IiLi128EEENS7_IiLi1EEEEEELb0EEENS_3XorINS5_IJS9_S8_EEELb1EEENS_11PassThroughISA_EENS_7UnMergeINS5_IJS8_SD_EEELb0EEENSJ_IS9_EESK_NSJ_IS8_EENS_21Merge_v3_division_modINS5_IJS9_SD_EEEEESK_EEENS5_IJNS_8SequenceIJLi0EEEENSU_IJLi2ELi1EEEENSU_IJLi3EEEENSU_IJLi5EEEENSU_IJLi4EEEENSU_IJLi6EEEENSU_IJLi7EEEENSU_IJLi9ELi8EEEENSU_IJLi10EEEEEEENS5_IJNSU_IJLi1ELi2ELi3EEEENSU_IJLi4ELi5EEEES10_NSU_IJLi7ELi8EEEENSU_IJLi9EEEES13_NSU_IJLi11EEEENSU_IJLi12EEEENSU_IJLi13EEEEEEENSU_IJLi11ELi12ELi13EEEENS7_IlLl32768EEEEENS4_INS5_IJNSL_INS5_IJNS7_IiLi4EEESD_NS7_IiLi2EEENS7_IiLi32EEEEEELb0EEEEEENS5_IJSV_EEENS5_IJNSU_IJLi1ELi2ELi3ELi4EEEEEEES1N_NS7_IlLl256EEEEENS4_INS5_IJSF_SI_SK_SN_SO_SK_SP_SS_SK_NSQ_INS5_IJS8_SA_EEEEENSL_INS5_IJS8_S1H_SA_EEELb0EEEEEENS5_IJSV_SW_SX_SY_SZ_S10_S11_S12_S13_NSU_IJLi11ELi13EEEES1A_EEENS5_IJS15_S16_S10_S17_S18_S13_S19_S1A_S1B_NSU_IJLi14EEEENSU_IJLi15ELi16ELi17EEEEEEENSU_IJLi15ELi16ELi17ELi14EEEES1E_EENS4_INS5_IJS1K_NSQ_INS5_IJS1G_S1H_EEEEENSL_INS5_IJS1G_S1G_SA_EEELb0EEEEEENS5_IJSV_NSU_IJLi1ELi3EEEENSU_IJLi2EEEEEEENS5_IJS1N_SY_NSU_IJLi6ELi7ELi8EEEEEEENSU_IJLi6ELi7ELi8ELi5EEEES1P_EELi16ELi32ELi256ELi256ELi128ELi16ELi16ELi8ELi4ELi32ELb0EE3RunILb1ELNS_10TailNumberE1ENS4_INS5_IJNS6_INS5_IJiiEEENS5_IJiSD_EEELb0EEENSL_IS2I_Lb0EEENSJ_IiEEEEENS5_IJSV_S29_NSU_IJLi1EEEEEEENS5_IJNSU_IJLi1ELi2EEEENSU_IJLi3ELi4EEEESY_EEENSU_IJLi3ELi5ELi4EEEElEES1F_NS_35ThreadGroupTensorSliceTransfer_v4r1INS_15ThisThreadBlockILi256EEENS_16tensor_operation12element_wise11PassThroughES30_LNS_25InMemoryDataOperationEnumE0ENSU_IJLi8ELi256ELi16EEEENSU_IJLi8ELi32ELi1EEEENSU_IJLi1ELi0ELi2EEEES2_S2_RKS2U_KS1F_S34_NSU_IJLi0ELi1ELi2EEEELi2ELi2ELi16ELi16ELi1ELi1ELb0ELb1ELi2EiEENS_13DynamicBufferILNS_16AddressSpaceEnumE1EKS2_lLb1ELNS_22AmdBufferCoherenceEnumE0EiEENS5_IJNS3A_ILS3B_2ES2_S1E_Lb1ELS3D_0EiEES3F_EEENS5_IJiiiEEENS4_INS5_IJNS6_INS5_IJiiiiEEENS5_IJiiiSD_EEELb0EEEEEES1M_S1O_S1N_lEENS_32ThreadwiseTensorSliceTransfer_v2IS3_S3_RKS3M_KS1Q_NSU_IJLi4ELi1ELi2ELi32EEEENSU_IJLi1ELi2ELi0ELi3EEEELi3ELi32ELi0ELb1ELb0ELb0EEENS3A_ILS3B_1EKS3_lLb1ELS3D_0EiEENS5_IJNS_12StaticBufferILS3B_4ES3_Li256ELb1EEES3X_EEES3I_NS_25StaticBufferTupleOfVectorILS3B_4EfLi32ELi8ELb1ELb0EEEEEvRKT1_RKT2_RT3_RKT4_RT5_RKT6_RKT7_RT8_RKT9_RT10_RKT11_RT12_i.uses_flat_scratch)
	.set _ZN2ck45kernel_gemm_xdl_cshuffle_v3_b_preshuffle_2ldsINS_41GridwiseGemm_xdl_cshuffle_v3_b_preshuffleINS_13tensor_layout4gemm8RowMajorENS3_11ColumnMajorES4_NS_9f8_fnuz_tENS_7pk_i4_tEfDF16_DF16_NS_16tensor_operation12element_wise11PassThroughESA_SA_LNS8_6device18GemmSpecializationE0ELi256ELi256ELi256ELi128ELi16ELi32ELi16ELi16ELi8ELi4ENS_8SequenceIJLi8ELi32ELi1EEEENSD_IJLi1ELi0ELi2EEEESF_Li2ELi16ELi16ELb0ELi0ENSD_IJLi4ELi64ELi1EEEESF_SF_Li2ELi32ELi32ELb0ELi0ELi1ELi1ENSD_IJLi1ELi32ELi1ELi8EEEELi4ELNS_26BlockGemmPipelineSchedulerE0ELNS_24BlockGemmPipelineVersionE2ES6_S6_Lb0ELb0ELi0EEELb1ELNS_25InMemoryDataOperationEnumE1ELi1ELNS_10TailNumberE1EEEvNT_8ArgumentE.has_dyn_sized_stack, or(0, .L_ZNK2ck52BlockwiseGemmXdlops_pipeline_bpreshuffle_bdequant_v3ILNS_26BlockGemmPipelineSchedulerE0ELi256ENS_9f8_fnuz_tENS_7pk_i4_tES2_fNS_16TensorDescriptorINS_5TupleIJNS_5EmbedINS5_IJNS_17integral_constantIiLi8EEENS7_IiLi256EEENS7_IiLi16EEEEEENS5_IJSA_NS7_IiLi128EEENS7_IiLi1EEEEEELb0EEENS_3XorINS5_IJS9_S8_EEELb1EEENS_11PassThroughISA_EENS_7UnMergeINS5_IJS8_SD_EEELb0EEENSJ_IS9_EESK_NSJ_IS8_EENS_21Merge_v3_division_modINS5_IJS9_SD_EEEEESK_EEENS5_IJNS_8SequenceIJLi0EEEENSU_IJLi2ELi1EEEENSU_IJLi3EEEENSU_IJLi5EEEENSU_IJLi4EEEENSU_IJLi6EEEENSU_IJLi7EEEENSU_IJLi9ELi8EEEENSU_IJLi10EEEEEEENS5_IJNSU_IJLi1ELi2ELi3EEEENSU_IJLi4ELi5EEEES10_NSU_IJLi7ELi8EEEENSU_IJLi9EEEES13_NSU_IJLi11EEEENSU_IJLi12EEEENSU_IJLi13EEEEEEENSU_IJLi11ELi12ELi13EEEENS7_IlLl32768EEEEENS4_INS5_IJNSL_INS5_IJNS7_IiLi4EEESD_NS7_IiLi2EEENS7_IiLi32EEEEEELb0EEEEEENS5_IJSV_EEENS5_IJNSU_IJLi1ELi2ELi3ELi4EEEEEEES1N_NS7_IlLl256EEEEENS4_INS5_IJSF_SI_SK_SN_SO_SK_SP_SS_SK_NSQ_INS5_IJS8_SA_EEEEENSL_INS5_IJS8_S1H_SA_EEELb0EEEEEENS5_IJSV_SW_SX_SY_SZ_S10_S11_S12_S13_NSU_IJLi11ELi13EEEES1A_EEENS5_IJS15_S16_S10_S17_S18_S13_S19_S1A_S1B_NSU_IJLi14EEEENSU_IJLi15ELi16ELi17EEEEEEENSU_IJLi15ELi16ELi17ELi14EEEES1E_EENS4_INS5_IJS1K_NSQ_INS5_IJS1G_S1H_EEEEENSL_INS5_IJS1G_S1G_SA_EEELb0EEEEEENS5_IJSV_NSU_IJLi1ELi3EEEENSU_IJLi2EEEEEEENS5_IJS1N_SY_NSU_IJLi6ELi7ELi8EEEEEEENSU_IJLi6ELi7ELi8ELi5EEEES1P_EELi16ELi32ELi256ELi256ELi128ELi16ELi16ELi8ELi4ELi32ELb0EE3RunILb1ELNS_10TailNumberE1ENS4_INS5_IJNS6_INS5_IJiiEEENS5_IJiSD_EEELb0EEENSL_IS2I_Lb0EEENSJ_IiEEEEENS5_IJSV_S29_NSU_IJLi1EEEEEEENS5_IJNSU_IJLi1ELi2EEEENSU_IJLi3ELi4EEEESY_EEENSU_IJLi3ELi5ELi4EEEElEES1F_NS_35ThreadGroupTensorSliceTransfer_v4r1INS_15ThisThreadBlockILi256EEENS_16tensor_operation12element_wise11PassThroughES30_LNS_25InMemoryDataOperationEnumE0ENSU_IJLi8ELi256ELi16EEEENSU_IJLi8ELi32ELi1EEEENSU_IJLi1ELi0ELi2EEEES2_S2_RKS2U_KS1F_S34_NSU_IJLi0ELi1ELi2EEEELi2ELi2ELi16ELi16ELi1ELi1ELb0ELb1ELi2EiEENS_13DynamicBufferILNS_16AddressSpaceEnumE1EKS2_lLb1ELNS_22AmdBufferCoherenceEnumE0EiEENS5_IJNS3A_ILS3B_2ES2_S1E_Lb1ELS3D_0EiEES3F_EEENS5_IJiiiEEENS4_INS5_IJNS6_INS5_IJiiiiEEENS5_IJiiiSD_EEELb0EEEEEES1M_S1O_S1N_lEENS_32ThreadwiseTensorSliceTransfer_v2IS3_S3_RKS3M_KS1Q_NSU_IJLi4ELi1ELi2ELi32EEEENSU_IJLi1ELi2ELi0ELi3EEEELi3ELi32ELi0ELb1ELb0ELb0EEENS3A_ILS3B_1EKS3_lLb1ELS3D_0EiEENS5_IJNS_12StaticBufferILS3B_4ES3_Li256ELb1EEES3X_EEES3I_NS_25StaticBufferTupleOfVectorILS3B_4EfLi32ELi8ELb1ELb0EEEEEvRKT1_RKT2_RT3_RKT4_RT5_RKT6_RKT7_RT8_RKT9_RT10_RKT11_RT12_i.has_dyn_sized_stack)
	.set _ZN2ck45kernel_gemm_xdl_cshuffle_v3_b_preshuffle_2ldsINS_41GridwiseGemm_xdl_cshuffle_v3_b_preshuffleINS_13tensor_layout4gemm8RowMajorENS3_11ColumnMajorES4_NS_9f8_fnuz_tENS_7pk_i4_tEfDF16_DF16_NS_16tensor_operation12element_wise11PassThroughESA_SA_LNS8_6device18GemmSpecializationE0ELi256ELi256ELi256ELi128ELi16ELi32ELi16ELi16ELi8ELi4ENS_8SequenceIJLi8ELi32ELi1EEEENSD_IJLi1ELi0ELi2EEEESF_Li2ELi16ELi16ELb0ELi0ENSD_IJLi4ELi64ELi1EEEESF_SF_Li2ELi32ELi32ELb0ELi0ELi1ELi1ENSD_IJLi1ELi32ELi1ELi8EEEELi4ELNS_26BlockGemmPipelineSchedulerE0ELNS_24BlockGemmPipelineVersionE2ES6_S6_Lb0ELb0ELi0EEELb1ELNS_25InMemoryDataOperationEnumE1ELi1ELNS_10TailNumberE1EEEvNT_8ArgumentE.has_recursion, or(0, .L_ZNK2ck52BlockwiseGemmXdlops_pipeline_bpreshuffle_bdequant_v3ILNS_26BlockGemmPipelineSchedulerE0ELi256ENS_9f8_fnuz_tENS_7pk_i4_tES2_fNS_16TensorDescriptorINS_5TupleIJNS_5EmbedINS5_IJNS_17integral_constantIiLi8EEENS7_IiLi256EEENS7_IiLi16EEEEEENS5_IJSA_NS7_IiLi128EEENS7_IiLi1EEEEEELb0EEENS_3XorINS5_IJS9_S8_EEELb1EEENS_11PassThroughISA_EENS_7UnMergeINS5_IJS8_SD_EEELb0EEENSJ_IS9_EESK_NSJ_IS8_EENS_21Merge_v3_division_modINS5_IJS9_SD_EEEEESK_EEENS5_IJNS_8SequenceIJLi0EEEENSU_IJLi2ELi1EEEENSU_IJLi3EEEENSU_IJLi5EEEENSU_IJLi4EEEENSU_IJLi6EEEENSU_IJLi7EEEENSU_IJLi9ELi8EEEENSU_IJLi10EEEEEEENS5_IJNSU_IJLi1ELi2ELi3EEEENSU_IJLi4ELi5EEEES10_NSU_IJLi7ELi8EEEENSU_IJLi9EEEES13_NSU_IJLi11EEEENSU_IJLi12EEEENSU_IJLi13EEEEEEENSU_IJLi11ELi12ELi13EEEENS7_IlLl32768EEEEENS4_INS5_IJNSL_INS5_IJNS7_IiLi4EEESD_NS7_IiLi2EEENS7_IiLi32EEEEEELb0EEEEEENS5_IJSV_EEENS5_IJNSU_IJLi1ELi2ELi3ELi4EEEEEEES1N_NS7_IlLl256EEEEENS4_INS5_IJSF_SI_SK_SN_SO_SK_SP_SS_SK_NSQ_INS5_IJS8_SA_EEEEENSL_INS5_IJS8_S1H_SA_EEELb0EEEEEENS5_IJSV_SW_SX_SY_SZ_S10_S11_S12_S13_NSU_IJLi11ELi13EEEES1A_EEENS5_IJS15_S16_S10_S17_S18_S13_S19_S1A_S1B_NSU_IJLi14EEEENSU_IJLi15ELi16ELi17EEEEEEENSU_IJLi15ELi16ELi17ELi14EEEES1E_EENS4_INS5_IJS1K_NSQ_INS5_IJS1G_S1H_EEEEENSL_INS5_IJS1G_S1G_SA_EEELb0EEEEEENS5_IJSV_NSU_IJLi1ELi3EEEENSU_IJLi2EEEEEEENS5_IJS1N_SY_NSU_IJLi6ELi7ELi8EEEEEEENSU_IJLi6ELi7ELi8ELi5EEEES1P_EELi16ELi32ELi256ELi256ELi128ELi16ELi16ELi8ELi4ELi32ELb0EE3RunILb1ELNS_10TailNumberE1ENS4_INS5_IJNS6_INS5_IJiiEEENS5_IJiSD_EEELb0EEENSL_IS2I_Lb0EEENSJ_IiEEEEENS5_IJSV_S29_NSU_IJLi1EEEEEEENS5_IJNSU_IJLi1ELi2EEEENSU_IJLi3ELi4EEEESY_EEENSU_IJLi3ELi5ELi4EEEElEES1F_NS_35ThreadGroupTensorSliceTransfer_v4r1INS_15ThisThreadBlockILi256EEENS_16tensor_operation12element_wise11PassThroughES30_LNS_25InMemoryDataOperationEnumE0ENSU_IJLi8ELi256ELi16EEEENSU_IJLi8ELi32ELi1EEEENSU_IJLi1ELi0ELi2EEEES2_S2_RKS2U_KS1F_S34_NSU_IJLi0ELi1ELi2EEEELi2ELi2ELi16ELi16ELi1ELi1ELb0ELb1ELi2EiEENS_13DynamicBufferILNS_16AddressSpaceEnumE1EKS2_lLb1ELNS_22AmdBufferCoherenceEnumE0EiEENS5_IJNS3A_ILS3B_2ES2_S1E_Lb1ELS3D_0EiEES3F_EEENS5_IJiiiEEENS4_INS5_IJNS6_INS5_IJiiiiEEENS5_IJiiiSD_EEELb0EEEEEES1M_S1O_S1N_lEENS_32ThreadwiseTensorSliceTransfer_v2IS3_S3_RKS3M_KS1Q_NSU_IJLi4ELi1ELi2ELi32EEEENSU_IJLi1ELi2ELi0ELi3EEEELi3ELi32ELi0ELb1ELb0ELb0EEENS3A_ILS3B_1EKS3_lLb1ELS3D_0EiEENS5_IJNS_12StaticBufferILS3B_4ES3_Li256ELb1EEES3X_EEES3I_NS_25StaticBufferTupleOfVectorILS3B_4EfLi32ELi8ELb1ELb0EEEEEvRKT1_RKT2_RT3_RKT4_RT5_RKT6_RKT7_RT8_RKT9_RT10_RKT11_RT12_i.has_recursion)
	.set _ZN2ck45kernel_gemm_xdl_cshuffle_v3_b_preshuffle_2ldsINS_41GridwiseGemm_xdl_cshuffle_v3_b_preshuffleINS_13tensor_layout4gemm8RowMajorENS3_11ColumnMajorES4_NS_9f8_fnuz_tENS_7pk_i4_tEfDF16_DF16_NS_16tensor_operation12element_wise11PassThroughESA_SA_LNS8_6device18GemmSpecializationE0ELi256ELi256ELi256ELi128ELi16ELi32ELi16ELi16ELi8ELi4ENS_8SequenceIJLi8ELi32ELi1EEEENSD_IJLi1ELi0ELi2EEEESF_Li2ELi16ELi16ELb0ELi0ENSD_IJLi4ELi64ELi1EEEESF_SF_Li2ELi32ELi32ELb0ELi0ELi1ELi1ENSD_IJLi1ELi32ELi1ELi8EEEELi4ELNS_26BlockGemmPipelineSchedulerE0ELNS_24BlockGemmPipelineVersionE2ES6_S6_Lb0ELb0ELi0EEELb1ELNS_25InMemoryDataOperationEnumE1ELi1ELNS_10TailNumberE1EEEvNT_8ArgumentE.has_indirect_call, or(0, .L_ZNK2ck52BlockwiseGemmXdlops_pipeline_bpreshuffle_bdequant_v3ILNS_26BlockGemmPipelineSchedulerE0ELi256ENS_9f8_fnuz_tENS_7pk_i4_tES2_fNS_16TensorDescriptorINS_5TupleIJNS_5EmbedINS5_IJNS_17integral_constantIiLi8EEENS7_IiLi256EEENS7_IiLi16EEEEEENS5_IJSA_NS7_IiLi128EEENS7_IiLi1EEEEEELb0EEENS_3XorINS5_IJS9_S8_EEELb1EEENS_11PassThroughISA_EENS_7UnMergeINS5_IJS8_SD_EEELb0EEENSJ_IS9_EESK_NSJ_IS8_EENS_21Merge_v3_division_modINS5_IJS9_SD_EEEEESK_EEENS5_IJNS_8SequenceIJLi0EEEENSU_IJLi2ELi1EEEENSU_IJLi3EEEENSU_IJLi5EEEENSU_IJLi4EEEENSU_IJLi6EEEENSU_IJLi7EEEENSU_IJLi9ELi8EEEENSU_IJLi10EEEEEEENS5_IJNSU_IJLi1ELi2ELi3EEEENSU_IJLi4ELi5EEEES10_NSU_IJLi7ELi8EEEENSU_IJLi9EEEES13_NSU_IJLi11EEEENSU_IJLi12EEEENSU_IJLi13EEEEEEENSU_IJLi11ELi12ELi13EEEENS7_IlLl32768EEEEENS4_INS5_IJNSL_INS5_IJNS7_IiLi4EEESD_NS7_IiLi2EEENS7_IiLi32EEEEEELb0EEEEEENS5_IJSV_EEENS5_IJNSU_IJLi1ELi2ELi3ELi4EEEEEEES1N_NS7_IlLl256EEEEENS4_INS5_IJSF_SI_SK_SN_SO_SK_SP_SS_SK_NSQ_INS5_IJS8_SA_EEEEENSL_INS5_IJS8_S1H_SA_EEELb0EEEEEENS5_IJSV_SW_SX_SY_SZ_S10_S11_S12_S13_NSU_IJLi11ELi13EEEES1A_EEENS5_IJS15_S16_S10_S17_S18_S13_S19_S1A_S1B_NSU_IJLi14EEEENSU_IJLi15ELi16ELi17EEEEEEENSU_IJLi15ELi16ELi17ELi14EEEES1E_EENS4_INS5_IJS1K_NSQ_INS5_IJS1G_S1H_EEEEENSL_INS5_IJS1G_S1G_SA_EEELb0EEEEEENS5_IJSV_NSU_IJLi1ELi3EEEENSU_IJLi2EEEEEEENS5_IJS1N_SY_NSU_IJLi6ELi7ELi8EEEEEEENSU_IJLi6ELi7ELi8ELi5EEEES1P_EELi16ELi32ELi256ELi256ELi128ELi16ELi16ELi8ELi4ELi32ELb0EE3RunILb1ELNS_10TailNumberE1ENS4_INS5_IJNS6_INS5_IJiiEEENS5_IJiSD_EEELb0EEENSL_IS2I_Lb0EEENSJ_IiEEEEENS5_IJSV_S29_NSU_IJLi1EEEEEEENS5_IJNSU_IJLi1ELi2EEEENSU_IJLi3ELi4EEEESY_EEENSU_IJLi3ELi5ELi4EEEElEES1F_NS_35ThreadGroupTensorSliceTransfer_v4r1INS_15ThisThreadBlockILi256EEENS_16tensor_operation12element_wise11PassThroughES30_LNS_25InMemoryDataOperationEnumE0ENSU_IJLi8ELi256ELi16EEEENSU_IJLi8ELi32ELi1EEEENSU_IJLi1ELi0ELi2EEEES2_S2_RKS2U_KS1F_S34_NSU_IJLi0ELi1ELi2EEEELi2ELi2ELi16ELi16ELi1ELi1ELb0ELb1ELi2EiEENS_13DynamicBufferILNS_16AddressSpaceEnumE1EKS2_lLb1ELNS_22AmdBufferCoherenceEnumE0EiEENS5_IJNS3A_ILS3B_2ES2_S1E_Lb1ELS3D_0EiEES3F_EEENS5_IJiiiEEENS4_INS5_IJNS6_INS5_IJiiiiEEENS5_IJiiiSD_EEELb0EEEEEES1M_S1O_S1N_lEENS_32ThreadwiseTensorSliceTransfer_v2IS3_S3_RKS3M_KS1Q_NSU_IJLi4ELi1ELi2ELi32EEEENSU_IJLi1ELi2ELi0ELi3EEEELi3ELi32ELi0ELb1ELb0ELb0EEENS3A_ILS3B_1EKS3_lLb1ELS3D_0EiEENS5_IJNS_12StaticBufferILS3B_4ES3_Li256ELb1EEES3X_EEES3I_NS_25StaticBufferTupleOfVectorILS3B_4EfLi32ELi8ELb1ELb0EEEEEvRKT1_RKT2_RT3_RKT4_RT5_RKT6_RKT7_RT8_RKT9_RT10_RKT11_RT12_i.has_indirect_call)
	.section	.AMDGPU.csdata,"",@progbits
; Kernel info:
; codeLenInByte = 13612
; TotalNumSgprs: 36
; NumVgprs: 152
; ScratchSize: 4400
; MemoryBound: 0
; FloatMode: 240
; IeeeMode: 1
; LDSByteSize: 65536 bytes/workgroup (compile time only)
; SGPRBlocks: 0
; VGPRBlocks: 30
; NumSGPRsForWavesPerEU: 36
; NumVGPRsForWavesPerEU: 241
; Occupancy: 4
; WaveLimiterHint : 1
; COMPUTE_PGM_RSRC2:SCRATCH_EN: 1
; COMPUTE_PGM_RSRC2:USER_SGPR: 2
; COMPUTE_PGM_RSRC2:TRAP_HANDLER: 0
; COMPUTE_PGM_RSRC2:TGID_X_EN: 1
; COMPUTE_PGM_RSRC2:TGID_Y_EN: 0
; COMPUTE_PGM_RSRC2:TGID_Z_EN: 1
; COMPUTE_PGM_RSRC2:TIDIG_COMP_CNT: 0
	.section	.text._ZN2ck45kernel_gemm_xdl_cshuffle_v3_b_preshuffle_2ldsINS_41GridwiseGemm_xdl_cshuffle_v3_b_preshuffleINS_13tensor_layout4gemm8RowMajorENS3_11ColumnMajorES4_NS_9f8_fnuz_tENS_7pk_i4_tEfDF16_DF16_NS_16tensor_operation12element_wise11PassThroughESA_SA_LNS8_6device18GemmSpecializationE0ELi256ELi256ELi256ELi128ELi16ELi32ELi16ELi16ELi8ELi4ENS_8SequenceIJLi8ELi32ELi1EEEENSD_IJLi1ELi0ELi2EEEESF_Li2ELi16ELi16ELb0ELi0ENSD_IJLi4ELi64ELi1EEEESF_SF_Li2ELi32ELi32ELb0ELi0ELi1ELi1ENSD_IJLi1ELi32ELi1ELi8EEEELi4ELNS_26BlockGemmPipelineSchedulerE0ELNS_24BlockGemmPipelineVersionE2ES6_S6_Lb0ELb0ELi0EEELb1ELNS_25InMemoryDataOperationEnumE0ELi1ELNS_10TailNumberE0EEEvNT_8ArgumentE,"axG",@progbits,_ZN2ck45kernel_gemm_xdl_cshuffle_v3_b_preshuffle_2ldsINS_41GridwiseGemm_xdl_cshuffle_v3_b_preshuffleINS_13tensor_layout4gemm8RowMajorENS3_11ColumnMajorES4_NS_9f8_fnuz_tENS_7pk_i4_tEfDF16_DF16_NS_16tensor_operation12element_wise11PassThroughESA_SA_LNS8_6device18GemmSpecializationE0ELi256ELi256ELi256ELi128ELi16ELi32ELi16ELi16ELi8ELi4ENS_8SequenceIJLi8ELi32ELi1EEEENSD_IJLi1ELi0ELi2EEEESF_Li2ELi16ELi16ELb0ELi0ENSD_IJLi4ELi64ELi1EEEESF_SF_Li2ELi32ELi32ELb0ELi0ELi1ELi1ENSD_IJLi1ELi32ELi1ELi8EEEELi4ELNS_26BlockGemmPipelineSchedulerE0ELNS_24BlockGemmPipelineVersionE2ES6_S6_Lb0ELb0ELi0EEELb1ELNS_25InMemoryDataOperationEnumE0ELi1ELNS_10TailNumberE0EEEvNT_8ArgumentE,comdat
	.protected	_ZN2ck45kernel_gemm_xdl_cshuffle_v3_b_preshuffle_2ldsINS_41GridwiseGemm_xdl_cshuffle_v3_b_preshuffleINS_13tensor_layout4gemm8RowMajorENS3_11ColumnMajorES4_NS_9f8_fnuz_tENS_7pk_i4_tEfDF16_DF16_NS_16tensor_operation12element_wise11PassThroughESA_SA_LNS8_6device18GemmSpecializationE0ELi256ELi256ELi256ELi128ELi16ELi32ELi16ELi16ELi8ELi4ENS_8SequenceIJLi8ELi32ELi1EEEENSD_IJLi1ELi0ELi2EEEESF_Li2ELi16ELi16ELb0ELi0ENSD_IJLi4ELi64ELi1EEEESF_SF_Li2ELi32ELi32ELb0ELi0ELi1ELi1ENSD_IJLi1ELi32ELi1ELi8EEEELi4ELNS_26BlockGemmPipelineSchedulerE0ELNS_24BlockGemmPipelineVersionE2ES6_S6_Lb0ELb0ELi0EEELb1ELNS_25InMemoryDataOperationEnumE0ELi1ELNS_10TailNumberE0EEEvNT_8ArgumentE ; -- Begin function _ZN2ck45kernel_gemm_xdl_cshuffle_v3_b_preshuffle_2ldsINS_41GridwiseGemm_xdl_cshuffle_v3_b_preshuffleINS_13tensor_layout4gemm8RowMajorENS3_11ColumnMajorES4_NS_9f8_fnuz_tENS_7pk_i4_tEfDF16_DF16_NS_16tensor_operation12element_wise11PassThroughESA_SA_LNS8_6device18GemmSpecializationE0ELi256ELi256ELi256ELi128ELi16ELi32ELi16ELi16ELi8ELi4ENS_8SequenceIJLi8ELi32ELi1EEEENSD_IJLi1ELi0ELi2EEEESF_Li2ELi16ELi16ELb0ELi0ENSD_IJLi4ELi64ELi1EEEESF_SF_Li2ELi32ELi32ELb0ELi0ELi1ELi1ENSD_IJLi1ELi32ELi1ELi8EEEELi4ELNS_26BlockGemmPipelineSchedulerE0ELNS_24BlockGemmPipelineVersionE2ES6_S6_Lb0ELb0ELi0EEELb1ELNS_25InMemoryDataOperationEnumE0ELi1ELNS_10TailNumberE0EEEvNT_8ArgumentE
	.globl	_ZN2ck45kernel_gemm_xdl_cshuffle_v3_b_preshuffle_2ldsINS_41GridwiseGemm_xdl_cshuffle_v3_b_preshuffleINS_13tensor_layout4gemm8RowMajorENS3_11ColumnMajorES4_NS_9f8_fnuz_tENS_7pk_i4_tEfDF16_DF16_NS_16tensor_operation12element_wise11PassThroughESA_SA_LNS8_6device18GemmSpecializationE0ELi256ELi256ELi256ELi128ELi16ELi32ELi16ELi16ELi8ELi4ENS_8SequenceIJLi8ELi32ELi1EEEENSD_IJLi1ELi0ELi2EEEESF_Li2ELi16ELi16ELb0ELi0ENSD_IJLi4ELi64ELi1EEEESF_SF_Li2ELi32ELi32ELb0ELi0ELi1ELi1ENSD_IJLi1ELi32ELi1ELi8EEEELi4ELNS_26BlockGemmPipelineSchedulerE0ELNS_24BlockGemmPipelineVersionE2ES6_S6_Lb0ELb0ELi0EEELb1ELNS_25InMemoryDataOperationEnumE0ELi1ELNS_10TailNumberE0EEEvNT_8ArgumentE
	.p2align	8
	.type	_ZN2ck45kernel_gemm_xdl_cshuffle_v3_b_preshuffle_2ldsINS_41GridwiseGemm_xdl_cshuffle_v3_b_preshuffleINS_13tensor_layout4gemm8RowMajorENS3_11ColumnMajorES4_NS_9f8_fnuz_tENS_7pk_i4_tEfDF16_DF16_NS_16tensor_operation12element_wise11PassThroughESA_SA_LNS8_6device18GemmSpecializationE0ELi256ELi256ELi256ELi128ELi16ELi32ELi16ELi16ELi8ELi4ENS_8SequenceIJLi8ELi32ELi1EEEENSD_IJLi1ELi0ELi2EEEESF_Li2ELi16ELi16ELb0ELi0ENSD_IJLi4ELi64ELi1EEEESF_SF_Li2ELi32ELi32ELb0ELi0ELi1ELi1ENSD_IJLi1ELi32ELi1ELi8EEEELi4ELNS_26BlockGemmPipelineSchedulerE0ELNS_24BlockGemmPipelineVersionE2ES6_S6_Lb0ELb0ELi0EEELb1ELNS_25InMemoryDataOperationEnumE0ELi1ELNS_10TailNumberE0EEEvNT_8ArgumentE,@function
_ZN2ck45kernel_gemm_xdl_cshuffle_v3_b_preshuffle_2ldsINS_41GridwiseGemm_xdl_cshuffle_v3_b_preshuffleINS_13tensor_layout4gemm8RowMajorENS3_11ColumnMajorES4_NS_9f8_fnuz_tENS_7pk_i4_tEfDF16_DF16_NS_16tensor_operation12element_wise11PassThroughESA_SA_LNS8_6device18GemmSpecializationE0ELi256ELi256ELi256ELi128ELi16ELi32ELi16ELi16ELi8ELi4ENS_8SequenceIJLi8ELi32ELi1EEEENSD_IJLi1ELi0ELi2EEEESF_Li2ELi16ELi16ELb0ELi0ENSD_IJLi4ELi64ELi1EEEESF_SF_Li2ELi32ELi32ELb0ELi0ELi1ELi1ENSD_IJLi1ELi32ELi1ELi8EEEELi4ELNS_26BlockGemmPipelineSchedulerE0ELNS_24BlockGemmPipelineVersionE2ES6_S6_Lb0ELb0ELi0EEELb1ELNS_25InMemoryDataOperationEnumE0ELi1ELNS_10TailNumberE0EEEvNT_8ArgumentE: ; @_ZN2ck45kernel_gemm_xdl_cshuffle_v3_b_preshuffle_2ldsINS_41GridwiseGemm_xdl_cshuffle_v3_b_preshuffleINS_13tensor_layout4gemm8RowMajorENS3_11ColumnMajorES4_NS_9f8_fnuz_tENS_7pk_i4_tEfDF16_DF16_NS_16tensor_operation12element_wise11PassThroughESA_SA_LNS8_6device18GemmSpecializationE0ELi256ELi256ELi256ELi128ELi16ELi32ELi16ELi16ELi8ELi4ENS_8SequenceIJLi8ELi32ELi1EEEENSD_IJLi1ELi0ELi2EEEESF_Li2ELi16ELi16ELb0ELi0ENSD_IJLi4ELi64ELi1EEEESF_SF_Li2ELi32ELi32ELb0ELi0ELi1ELi1ENSD_IJLi1ELi32ELi1ELi8EEEELi4ELNS_26BlockGemmPipelineSchedulerE0ELNS_24BlockGemmPipelineVersionE2ES6_S6_Lb0ELb0ELi0EEELb1ELNS_25InMemoryDataOperationEnumE0ELi1ELNS_10TailNumberE0EEEvNT_8ArgumentE
; %bb.0:
	s_clause 0x5
	s_load_b64 s[14:15], s[0:1], 0x24
	s_load_b96 s[4:6], s[0:1], 0x60
	s_load_b128 s[16:19], s[0:1], 0x10
	s_load_b32 s7, s[0:1], 0x34
	s_load_b32 s12, s[0:1], 0x3c
	s_load_b128 s[0:3], s[0:1], 0x50
	s_lshr_b32 s13, ttmp7, 16
	v_mov_b32_e32 v41, v0
	s_mov_b32 s22, ttmp9
	s_movk_i32 s32, 0xd20
	s_wait_kmcnt 0x0
	s_cmp_gt_i32 s15, 1
	s_cselect_b32 s8, -1, 0
	s_bitcmp1_b32 s6, 0
	s_cselect_b32 s6, -1, 0
	s_delay_alu instid0(SALU_CYCLE_1)
	s_and_b32 s6, s8, s6
	s_mov_b64 s[8:9], 0
	s_and_not1_b32 vcc_lo, exec_lo, s6
	s_cbranch_vccnz .LBB10_2
; %bb.1:
	s_mul_i32 s6, s16, s13
	s_delay_alu instid0(SALU_CYCLE_1) | instskip(NEXT) | instid1(SALU_CYCLE_1)
	s_mul_i32 s8, s6, s17
	s_ashr_i32 s9, s8, 31
.LBB10_2:
	s_add_co_i32 s6, s15, -1
	s_mul_i32 s20, s7, s13
	s_mul_i32 s10, s6, s7
	v_dual_mov_b32 v0, 0 :: v_dual_mov_b32 v1, s16
	s_sub_co_i32 s10, s18, s10
	s_cmp_lt_u32 s13, s6
	s_mov_b32 s6, 0
	s_cselect_b32 s10, s7, s10
	s_add_co_i32 s7, s18, 63
	s_ashr_i32 s21, s20, 31
	s_ashr_i32 s11, s7, 31
	s_add_nc_u64 s[0:1], s[0:1], s[20:21]
	s_lshr_b32 s11, s11, 26
	s_mov_b32 s20, s19
	s_add_co_i32 s11, s7, s11
	s_mov_b32 s21, s6
	s_add_co_i32 s7, s16, -1
	s_add_co_i32 s15, s17, 15
	s_mul_u64 s[20:21], s[6:7], s[20:21]
	s_ashr_i32 s18, s11, 6
	s_ashr_i32 s25, s21, 31
	;; [unrolled: 1-line block ×3, first 2 shown]
	s_mov_b32 s24, s21
	s_getpc_b64 s[20:21]
	s_sext_i32_i16 s21, s21
	s_add_co_u32 s20, s20, _ZN2ck41GridwiseGemm_xdl_cshuffle_v3_b_preshuffleINS_13tensor_layout4gemm8RowMajorENS2_11ColumnMajorES3_NS_9f8_fnuz_tENS_7pk_i4_tEfDF16_DF16_NS_16tensor_operation12element_wise11PassThroughES9_S9_LNS7_6device18GemmSpecializationE0ELi256ELi256ELi256ELi128ELi16ELi32ELi16ELi16ELi8ELi4ENS_8SequenceIJLi8ELi32ELi1EEEENSC_IJLi1ELi0ELi2EEEESE_Li2ELi16ELi16ELb0ELi0ENSC_IJLi4ELi64ELi1EEEESE_SE_Li2ELi32ELi32ELb0ELi0ELi1ELi1ENSC_IJLi1ELi32ELi1ELi8EEEELi4ELNS_26BlockGemmPipelineSchedulerE0ELNS_24BlockGemmPipelineVersionE2ES5_S5_Lb0ELb0ELi0EE5NWaveE@rel32@lo+8
	s_add_co_ci_u32 s21, s21, _ZN2ck41GridwiseGemm_xdl_cshuffle_v3_b_preshuffleINS_13tensor_layout4gemm8RowMajorENS2_11ColumnMajorES3_NS_9f8_fnuz_tENS_7pk_i4_tEfDF16_DF16_NS_16tensor_operation12element_wise11PassThroughES9_S9_LNS7_6device18GemmSpecializationE0ELi256ELi256ELi256ELi128ELi16ELi32ELi16ELi16ELi8ELi4ENS_8SequenceIJLi8ELi32ELi1EEEENSC_IJLi1ELi0ELi2EEEESE_Li2ELi16ELi16ELb0ELi0ENSC_IJLi4ELi64ELi1EEEESE_SE_Li2ELi32ELi32ELb0ELi0ELi1ELi1ENSC_IJLi1ELi32ELi1ELi8EEEELi4ELNS_26BlockGemmPipelineSchedulerE0ELNS_24BlockGemmPipelineVersionE2ES5_S5_Lb0ELb0ELi0EE5NWaveE@rel32@hi+16
	v_dual_mov_b32 v2, s10 :: v_dual_mov_b32 v3, s19
	s_load_b32 s23, s[20:21], 0x0
	v_mov_b32_e32 v4, 16
	s_add_nc_u64 s[24:25], s[24:25], s[10:11]
	s_mul_i32 s11, s16, s12
	s_ashr_i32 s20, s15, 31
	s_wait_alu 0xfffe
	s_lshl_b32 s11, s11, 4
	s_clause 0x1
	scratch_store_b96 off, v[1:3], off offset:3232
	scratch_store_b32 off, v0, off offset:3244
	v_mov_b32_e32 v3, s12
	s_wait_alu 0xfffe
	v_dual_mov_b32 v5, v4 :: v_dual_mov_b32 v2, s11
	s_lshr_b32 s11, s20, 26
	v_dual_mov_b32 v6, s24 :: v_dual_mov_b32 v7, s25
	s_wait_alu 0xfffe
	s_add_co_i32 s15, s15, s11
	s_lshl_b32 s11, s18, 12
	s_ashr_i32 s30, s15, 6
	s_lshl_b32 s15, s18, 10
	s_add_co_i32 s21, s30, -1
	s_add_co_i32 s26, s15, 0xfffffc00
	s_wait_alu 0xfffe
	s_mul_i32 s27, s21, s11
	s_wait_kmcnt 0x0
	s_add_co_i32 s20, s23, -1
	s_or_b32 s28, s27, 0x400
	s_mul_i32 s31, s15, s30
	s_mul_i32 s20, s20, s15
	s_ashr_i32 s27, s26, 31
	s_ashr_i32 s29, s28, 31
	s_clause 0x3
	scratch_store_b96 off, v[3:5], off offset:3248
	scratch_store_b8 off, v0, off offset:3260
	scratch_store_b64 off, v[1:2], off offset:3264
	scratch_store_b64 off, v[6:7], off offset:3272
	v_dual_mov_b32 v1, s30 :: v_dual_mov_b32 v2, s23
	v_dual_mov_b32 v3, s18 :: v_dual_mov_b32 v4, 0x400
	s_mul_i32 s18, s31, s23
	s_ashr_i32 s21, s20, 31
	s_add_nc_u64 s[26:27], s[28:29], s[26:27]
	s_wait_alu 0xfffe
	v_mov_b32_e32 v5, s18
	s_add_nc_u64 s[20:21], s[26:27], s[20:21]
	scratch_store_b128 off, v[1:4], off offset:3280
	v_dual_mov_b32 v2, s11 :: v_dual_mov_b32 v3, s15
	v_dual_mov_b32 v13, s20 :: v_dual_mov_b32 v6, s1
	;; [unrolled: 1-line block ×5, first 2 shown]
	scratch_store_b32 off, v5, off offset:3312
	v_dual_mov_b32 v5, s0 :: v_dual_mov_b32 v8, s25
	s_cmp_lt_u32 s7, 0x100
	s_clause 0x5
	scratch_store_b96 off, v[2:4], off offset:3296
	scratch_store_b64 off, v[13:14], off offset:3320
	scratch_store_b128 off, v[5:8], off
	scratch_store_b8 off, v0, off offset:16
	scratch_store_b128 off, v[9:12], off offset:24
	scratch_store_b8 off, v0, off offset:40
	s_cbranch_scc1 .LBB10_6
; %bb.3:
	s_add_co_i32 s0, s17, -1
	s_wait_alu 0xfffe
	s_cmp_lt_u32 s0, 0x100
	s_mov_b32 s0, 0
	s_cbranch_scc1 .LBB10_10
; %bb.4:
	s_add_co_i32 s0, s16, 0xff
	s_add_co_i32 s1, s17, 0xff
	s_wait_alu 0xfffe
	s_ashr_i32 s2, s0, 31
	s_ashr_i32 s3, s1, 31
	s_wait_alu 0xfffe
	s_lshr_b32 s2, s2, 24
	s_lshr_b32 s3, s3, 24
	s_wait_alu 0xfffe
	s_add_co_i32 s0, s0, s2
	s_add_co_i32 s2, s1, s3
	s_wait_alu 0xfffe
	s_ashr_i32 s1, s0, 8
	s_ashr_i32 s0, s2, 8
	;; [unrolled: 1-line block ×3, first 2 shown]
	s_wait_alu 0xfffe
	s_mul_i32 s2, s0, s1
	s_wait_alu 0xfffe
	s_add_co_i32 s3, s2, 7
	s_wait_alu 0xfffe
	s_ashr_i32 s18, s3, 31
	s_wait_alu 0xfffe
	s_lshr_b32 s18, s18, 29
	s_wait_alu 0xfffe
	s_add_co_i32 s23, s3, s18
	s_lshr_b32 s3, s20, 29
	s_wait_alu 0xfffe
	s_and_b32 s18, s23, -8
	s_add_co_i32 s21, s22, s3
	s_wait_alu 0xfffe
	s_sub_co_i32 s3, s2, s18
	s_and_b32 s2, s21, -8
	s_wait_alu 0xfffe
	s_add_co_i32 s3, s3, 8
	s_sub_co_i32 s18, s22, s2
	s_ashr_i32 s20, s23, 3
	s_wait_alu 0xfffe
	s_cmp_gt_i32 s18, s3
	s_cbranch_scc1 .LBB10_7
; %bb.5:
	s_mul_i32 s2, s20, s18
	s_ashr_i32 s21, s21, 3
	s_cbranch_execz .LBB10_8
	s_branch .LBB10_9
.LBB10_6:
	s_mov_b32 s23, s6
	s_branch .LBB10_11
.LBB10_7:
                                        ; implicit-def: $sgpr2
	s_ashr_i32 s21, s21, 3
.LBB10_8:
	s_add_co_i32 s2, s20, -1
	s_wait_alu 0xfffe
	s_mul_i32 s2, s2, s18
	s_wait_alu 0xfffe
	s_add_co_i32 s2, s3, s2
.LBB10_9:
	s_abs_i32 s3, s0
	s_wait_alu 0xfffe
	s_add_co_i32 s2, s2, s21
	s_cvt_f32_u32 s18, s3
	s_sub_co_i32 s20, 0, s3
	s_wait_alu 0xfffe
	s_abs_i32 s21, s2
	v_rcp_iflag_f32_e32 v1, s18
	s_delay_alu instid0(TRANS32_DEP_1) | instskip(SKIP_2) | instid1(SALU_CYCLE_2)
	v_readfirstlane_b32 s18, v1
	s_mul_f32 s18, s18, 0x4f7ffffe
	s_wait_alu 0xfffe
	s_cvt_u32_f32 s18, s18
	s_wait_alu 0xfffe
	s_delay_alu instid0(SALU_CYCLE_2)
	s_mul_i32 s20, s20, s18
	s_wait_alu 0xfffe
	s_mul_hi_u32 s20, s18, s20
	s_wait_alu 0xfffe
	s_add_co_i32 s18, s18, s20
	s_xor_b32 s20, s2, s0
	s_wait_alu 0xfffe
	s_mul_hi_u32 s18, s21, s18
	s_ashr_i32 s20, s20, 31
	s_wait_alu 0xfffe
	s_mul_i32 s22, s18, s3
	s_wait_alu 0xfffe
	s_sub_co_i32 s21, s21, s22
	s_add_co_i32 s22, s18, 1
	s_wait_alu 0xfffe
	s_sub_co_i32 s23, s21, s3
	s_cmp_ge_u32 s21, s3
	s_cselect_b32 s18, s22, s18
	s_wait_alu 0xfffe
	s_cselect_b32 s21, s23, s21
	s_add_co_i32 s22, s18, 1
	s_wait_alu 0xfffe
	s_cmp_ge_u32 s21, s3
	s_cselect_b32 s3, s22, s18
	s_lshr_b32 s18, s1, 30
	s_wait_alu 0xfffe
	s_xor_b32 s3, s3, s20
	s_add_co_i32 s18, s1, s18
	s_wait_alu 0xfffe
	s_sub_co_i32 s3, s3, s20
	s_and_b32 s18, s18, -4
	s_wait_alu 0xfffe
	s_mul_i32 s20, s3, s0
	s_sub_co_i32 s1, s1, s18
	s_wait_alu 0xfffe
	s_sub_co_i32 s2, s2, s20
	s_cmp_ge_i32 s3, s18
	s_cselect_b32 s1, s1, 4
	s_ashr_i32 s21, s3, 31
	s_wait_alu 0xfffe
	s_abs_i32 s18, s1
	s_lshr_b32 s21, s21, 30
	s_wait_alu 0xfffe
	s_cvt_f32_u32 s20, s18
	s_add_co_i32 s21, s3, s21
	s_sub_co_i32 s22, 0, s18
	s_wait_alu 0xfffe
	s_and_b32 s21, s21, -4
	v_rcp_iflag_f32_e32 v1, s20
	s_wait_alu 0xfffe
	s_sub_co_i32 s21, s3, s21
	s_wait_alu 0xfffe
	s_mul_i32 s0, s21, s0
	s_wait_alu 0xfffe
	s_add_co_i32 s2, s0, s2
	s_delay_alu instid0(TRANS32_DEP_1) | instskip(SKIP_2) | instid1(SALU_CYCLE_2)
	v_readfirstlane_b32 s20, v1
	s_mul_f32 s20, s20, 0x4f7ffffe
	s_wait_alu 0xfffe
	s_cvt_u32_f32 s20, s20
	s_wait_alu 0xfffe
	s_delay_alu instid0(SALU_CYCLE_2)
	s_mul_i32 s22, s22, s20
	s_wait_alu 0xfffe
	s_mul_hi_u32 s0, s20, s22
	s_abs_i32 s22, s2
	s_wait_alu 0xfffe
	s_add_co_i32 s20, s20, s0
	s_wait_alu 0xfffe
	s_mul_hi_u32 s0, s22, s20
	s_xor_b32 s20, s2, s1
	s_wait_alu 0xfffe
	s_mul_i32 s23, s0, s18
	s_ashr_i32 s20, s20, 31
	s_wait_alu 0xfffe
	s_sub_co_i32 s22, s22, s23
	s_add_co_i32 s23, s0, 1
	s_wait_alu 0xfffe
	s_sub_co_i32 s24, s22, s18
	s_cmp_ge_u32 s22, s18
	s_cselect_b32 s0, s23, s0
	s_wait_alu 0xfffe
	s_cselect_b32 s22, s24, s22
	s_add_co_i32 s23, s0, 1
	s_wait_alu 0xfffe
	s_cmp_ge_u32 s22, s18
	s_cselect_b32 s0, s23, s0
	s_wait_alu 0xfffe
	s_xor_b32 s0, s0, s20
	s_wait_alu 0xfffe
	s_sub_co_i32 s0, s0, s20
	s_wait_alu 0xfffe
	s_mul_i32 s1, s0, s1
	s_wait_alu 0xfffe
	s_sub_co_i32 s1, s2, s1
	s_wait_alu 0xfffe
	s_add_co_i32 s1, s1, s3
	s_wait_alu 0xfffe
	s_sub_co_i32 s22, s1, s21
.LBB10_10:
	s_wait_alu 0xfffe
	s_mov_b32 s23, s22
	s_mov_b32 s22, s0
.LBB10_11:
	v_and_b32_e32 v7, 7, v41
	s_mov_b64 s[0:1], src_shared_base
	s_add_co_i32 s0, s10, 63
	v_dual_mov_b32 v16, v0 :: v_dual_and_b32 v15, 0xf8, v41
	s_delay_alu instid0(VALU_DEP_2)
	v_dual_mov_b32 v3, v7 :: v_dual_lshlrev_b32 v6, 4, v7
	s_wait_alu 0xfffe
	s_ashr_i32 s2, s0, 31
	s_mov_b32 s24, s6
	s_mov_b32 s25, s6
	;; [unrolled: 1-line block ×4, first 2 shown]
	s_wait_alu 0xfffe
	s_lshr_b32 s2, s2, 26
	v_dual_mov_b32 v11, s24 :: v_dual_mov_b32 v12, s25
	v_dual_mov_b32 v13, s26 :: v_dual_mov_b32 v14, s27
	v_lshl_or_b32 v1, s23, 8, v15
	v_lshl_or_b32 v2, v15, 7, v6
	s_wait_alu 0xfffe
	s_add_co_i32 s0, s0, s2
	s_lshl_b32 s10, s22, 2
	s_wait_alu 0xfffe
	s_ashr_i32 s0, s0, 6
	s_getpc_b64 s[2:3]
	s_wait_alu 0xfffe
	s_sext_i32_i16 s3, s3
	s_add_co_u32 s2, s2, __const._ZN2ck41GridwiseGemm_xdl_cshuffle_v3_b_preshuffleINS_13tensor_layout4gemm8RowMajorENS2_11ColumnMajorES3_NS_9f8_fnuz_tENS_7pk_i4_tEfDF16_DF16_NS_16tensor_operation12element_wise11PassThroughES9_S9_LNS7_6device18GemmSpecializationE0ELi256ELi256ELi256ELi128ELi16ELi32ELi16ELi16ELi8ELi4ENS_8SequenceIJLi8ELi32ELi1EEEENSC_IJLi1ELi0ELi2EEEESE_Li2ELi16ELi16ELb0ELi0ENSC_IJLi4ELi64ELi1EEEESE_SE_Li2ELi32ELi32ELb0ELi0ELi1ELi1ENSC_IJLi1ELi32ELi1ELi8EEEELi4ELNS_26BlockGemmPipelineSchedulerE0ELNS_24BlockGemmPipelineVersionE2ES5_S5_Lb0ELb0ELi0EE8Run_2LdsIKNS_16TensorDescriptorINS_5TupleIJNS_5EmbedINSM_IJiiEEENSM_IJiNS_17integral_constantIiLi1EEEEEELb0EEENS_7UnMergeISO_Lb0EEENS_11PassThroughIiEEEEENSM_IJNSC_IJLi0EEEENSC_IJLi2EEEENSC_IJLi1EEEEEEENSM_IJNSC_IJLi1ELi2EEEENSC_IJLi3ELi4EEEENSC_IJLi5EEEEEEENSC_IJLi3ELi5ELi4EEEElEEKNSL_INSM_IJNSN_INSM_IJiiiiEEENSM_IJiiiSQ_EEELb0EEEEEENSM_IJSY_EEENSM_IJNSC_IJLi1ELi2ELi3ELi4EEEEEEES1E_lEEKNSL_INSM_IJSS_NS_8RightPadIiiLb0EEES1J_NST_INSM_IJiNSP_IiLi256EEEEEELb0EEES1M_EEENSM_IJSY_S10_SZ_NSC_IJLi3EEEENSC_IJLi4EEEEEEENSM_IJS12_S1O_S1P_NSC_IJLi5ELi6EEEENSC_IJLi7ELi8EEEEEEENSC_IJLi5ELi6ELi7ELi8EEEElEELb1ELNS_25InMemoryDataOperationEnumE0ELNS_10TailNumberE0EEEvPKS5_PKS6_PDF16_PvS24_RKNSJ_7ProblemERKT_RKT0_RKT1_i.a_block_slice_copy_step@rel32@lo+12
	s_wait_alu 0xfffe
	s_add_co_ci_u32 s3, s3, __const._ZN2ck41GridwiseGemm_xdl_cshuffle_v3_b_preshuffleINS_13tensor_layout4gemm8RowMajorENS2_11ColumnMajorES3_NS_9f8_fnuz_tENS_7pk_i4_tEfDF16_DF16_NS_16tensor_operation12element_wise11PassThroughES9_S9_LNS7_6device18GemmSpecializationE0ELi256ELi256ELi256ELi128ELi16ELi32ELi16ELi16ELi8ELi4ENS_8SequenceIJLi8ELi32ELi1EEEENSC_IJLi1ELi0ELi2EEEESE_Li2ELi16ELi16ELb0ELi0ENSC_IJLi4ELi64ELi1EEEESE_SE_Li2ELi32ELi32ELb0ELi0ELi1ELi1ENSC_IJLi1ELi32ELi1ELi8EEEELi4ELNS_26BlockGemmPipelineSchedulerE0ELNS_24BlockGemmPipelineVersionE2ES5_S5_Lb0ELb0ELi0EE8Run_2LdsIKNS_16TensorDescriptorINS_5TupleIJNS_5EmbedINSM_IJiiEEENSM_IJiNS_17integral_constantIiLi1EEEEEELb0EEENS_7UnMergeISO_Lb0EEENS_11PassThroughIiEEEEENSM_IJNSC_IJLi0EEEENSC_IJLi2EEEENSC_IJLi1EEEEEEENSM_IJNSC_IJLi1ELi2EEEENSC_IJLi3ELi4EEEENSC_IJLi5EEEEEEENSC_IJLi3ELi5ELi4EEEElEEKNSL_INSM_IJNSN_INSM_IJiiiiEEENSM_IJiiiSQ_EEELb0EEEEEENSM_IJSY_EEENSM_IJNSC_IJLi1ELi2ELi3ELi4EEEEEEES1E_lEEKNSL_INSM_IJSS_NS_8RightPadIiiLb0EEES1J_NST_INSM_IJiNSP_IiLi256EEEEEELb0EEES1M_EEENSM_IJSY_S10_SZ_NSC_IJLi3EEEENSC_IJLi4EEEEEEENSM_IJS12_S1O_S1P_NSC_IJLi5ELi6EEEENSC_IJLi7ELi8EEEEEEENSC_IJLi5ELi6ELi7ELi8EEEElEELb1ELNS_25InMemoryDataOperationEnumE0ELNS_10TailNumberE0EEEvPKS5_PKS6_PDF16_PvS24_RKNSJ_7ProblemERKT_RKT0_RKT1_i.a_block_slice_copy_step@rel32@hi+24
	s_clause 0x1f
	scratch_store_b128 off, v[11:14], off offset:160
	scratch_store_b128 off, v[11:14], off offset:144
	;; [unrolled: 1-line block ×8, first 2 shown]
	scratch_store_b16 off, v0, off offset:176
	scratch_store_b128 off, v[11:14], off offset:192
	scratch_store_b128 off, v[11:14], off offset:208
	;; [unrolled: 1-line block ×7, first 2 shown]
	scratch_store_b16 off, v0, off offset:320
	scratch_store_b128 off, v[11:14], off offset:304
	scratch_store_b128 off, v[11:14], off offset:448
	;; [unrolled: 1-line block ×9, first 2 shown]
	scratch_store_b8 off, v0, off offset:464
	scratch_store_b128 off, v[11:14], off offset:466
	scratch_store_b128 off, v[11:14], off offset:482
	;; [unrolled: 1-line block ×5, first 2 shown]
	s_clause 0xa
	scratch_store_b128 off, v[11:14], off offset:546
	scratch_store_b128 off, v[11:14], off offset:562
	;; [unrolled: 1-line block ×3, first 2 shown]
	scratch_store_b8 off, v0, off offset:594
	scratch_store_b128 off, v[11:14], off offset:720
	scratch_store_b128 off, v[11:14], off offset:704
	;; [unrolled: 1-line block ×7, first 2 shown]
	v_mov_b32_e32 v2, s6
	v_mad_co_u64_u32 v[4:5], null, v1, s19, v[6:7]
	s_getpc_b64 s[18:19]
	s_wait_alu 0xfffe
	s_sext_i32_i16 s19, s19
	s_add_co_u32 s18, s18, __const._ZN2ck41GridwiseGemm_xdl_cshuffle_v3_b_preshuffleINS_13tensor_layout4gemm8RowMajorENS2_11ColumnMajorES3_NS_9f8_fnuz_tENS_7pk_i4_tEfDF16_DF16_NS_16tensor_operation12element_wise11PassThroughES9_S9_LNS7_6device18GemmSpecializationE0ELi256ELi256ELi256ELi128ELi16ELi32ELi16ELi16ELi8ELi4ENS_8SequenceIJLi8ELi32ELi1EEEENSC_IJLi1ELi0ELi2EEEESE_Li2ELi16ELi16ELb0ELi0ENSC_IJLi4ELi64ELi1EEEESE_SE_Li2ELi32ELi32ELb0ELi0ELi1ELi1ENSC_IJLi1ELi32ELi1ELi8EEEELi4ELNS_26BlockGemmPipelineSchedulerE0ELNS_24BlockGemmPipelineVersionE2ES5_S5_Lb0ELb0ELi0EE8Run_2LdsIKNS_16TensorDescriptorINS_5TupleIJNS_5EmbedINSM_IJiiEEENSM_IJiNS_17integral_constantIiLi1EEEEEELb0EEENS_7UnMergeISO_Lb0EEENS_11PassThroughIiEEEEENSM_IJNSC_IJLi0EEEENSC_IJLi2EEEENSC_IJLi1EEEEEEENSM_IJNSC_IJLi1ELi2EEEENSC_IJLi3ELi4EEEENSC_IJLi5EEEEEEENSC_IJLi3ELi5ELi4EEEElEEKNSL_INSM_IJNSN_INSM_IJiiiiEEENSM_IJiiiSQ_EEELb0EEEEEENSM_IJSY_EEENSM_IJNSC_IJLi1ELi2ELi3ELi4EEEEEEES1E_lEEKNSL_INSM_IJSS_NS_8RightPadIiiLb0EEES1J_NST_INSM_IJiNSP_IiLi256EEEEEELb0EEES1M_EEENSM_IJSY_S10_SZ_NSC_IJLi3EEEENSC_IJLi4EEEEEEENSM_IJS12_S1O_S1P_NSC_IJLi5ELi6EEEENSC_IJLi7ELi8EEEEEEENSC_IJLi5ELi6ELi7ELi8EEEElEELb1ELNS_25InMemoryDataOperationEnumE0ELNS_10TailNumberE0EEEvPKS5_PKS6_PDF16_PvS24_RKNSJ_7ProblemERKT_RKT0_RKT1_i.b_block_slice_copy_step@rel32@lo+12
	s_wait_alu 0xfffe
	s_add_co_ci_u32 s19, s19, __const._ZN2ck41GridwiseGemm_xdl_cshuffle_v3_b_preshuffleINS_13tensor_layout4gemm8RowMajorENS2_11ColumnMajorES3_NS_9f8_fnuz_tENS_7pk_i4_tEfDF16_DF16_NS_16tensor_operation12element_wise11PassThroughES9_S9_LNS7_6device18GemmSpecializationE0ELi256ELi256ELi256ELi128ELi16ELi32ELi16ELi16ELi8ELi4ENS_8SequenceIJLi8ELi32ELi1EEEENSC_IJLi1ELi0ELi2EEEESE_Li2ELi16ELi16ELb0ELi0ENSC_IJLi4ELi64ELi1EEEESE_SE_Li2ELi32ELi32ELb0ELi0ELi1ELi1ENSC_IJLi1ELi32ELi1ELi8EEEELi4ELNS_26BlockGemmPipelineSchedulerE0ELNS_24BlockGemmPipelineVersionE2ES5_S5_Lb0ELb0ELi0EE8Run_2LdsIKNS_16TensorDescriptorINS_5TupleIJNS_5EmbedINSM_IJiiEEENSM_IJiNS_17integral_constantIiLi1EEEEEELb0EEENS_7UnMergeISO_Lb0EEENS_11PassThroughIiEEEEENSM_IJNSC_IJLi0EEEENSC_IJLi2EEEENSC_IJLi1EEEEEEENSM_IJNSC_IJLi1ELi2EEEENSC_IJLi3ELi4EEEENSC_IJLi5EEEEEEENSC_IJLi3ELi5ELi4EEEElEEKNSL_INSM_IJNSN_INSM_IJiiiiEEENSM_IJiiiSQ_EEELb0EEEEEENSM_IJSY_EEENSM_IJNSC_IJLi1ELi2ELi3ELi4EEEEEEES1E_lEEKNSL_INSM_IJSS_NS_8RightPadIiiLb0EEES1J_NST_INSM_IJiNSP_IiLi256EEEEEELb0EEES1M_EEENSM_IJSY_S10_SZ_NSC_IJLi3EEEENSC_IJLi4EEEEEEENSM_IJS12_S1O_S1P_NSC_IJLi5ELi6EEEENSC_IJLi7ELi8EEEEEEENSC_IJLi5ELi6ELi7ELi8EEEElEELb1ELNS_25InMemoryDataOperationEnumE0ELNS_10TailNumberE0EEEvPKS5_PKS6_PDF16_PvS24_RKNSJ_7ProblemERKT_RKT0_RKT1_i.b_block_slice_copy_step@rel32@hi+24
	s_clause 0x1
	scratch_store_b128 off, v[11:14], off offset:624
	scratch_store_b128 off, v[11:14], off offset:608
	s_load_b64 s[2:3], s[2:3], 0x0
	s_load_b128 s[24:27], s[18:19], 0x0
	v_bfe_u32 v10, v41, 5, 2
	v_dual_mov_b32 v17, v15 :: v_dual_lshlrev_b32 v8, 5, v41
	v_dual_mov_b32 v5, v1 :: v_dual_mov_b32 v18, v7
	s_delay_alu instid0(VALU_DEP_3) | instskip(SKIP_1) | instid1(VALU_DEP_4)
	v_mul_lo_u32 v9, s15, v10
	v_mov_b32_e32 v1, v7
	v_and_b32_e32 v19, 0x3e0, v8
	v_mov_b32_e32 v3, v15
	s_mul_i32 s0, s0, s13
	s_mul_i32 s11, s10, s11
	s_wait_alu 0xfffe
	s_lshl_b32 s13, s0, 10
	v_mov_b32_e32 v11, s0
	v_or_b32_e32 v8, v9, v19
	scratch_store_b128 off, v[0:3], off offset:800
	v_dual_mov_b32 v2, v15 :: v_dual_mov_b32 v3, s6
	v_mov_b32_e32 v9, s10
	s_wait_alu 0xfffe
	v_add3_u32 v8, s11, s13, v8
	s_clause 0x2
	scratch_store_b16 off, v0, off offset:736
	scratch_store_b128 off, v[4:7], off offset:752
	scratch_store_b128 off, v[0:3], off offset:816
	s_wait_kmcnt 0x0
	v_dual_mov_b32 v2, s24 :: v_dual_mov_b32 v1, s1
	v_dual_mov_b32 v3, s25 :: v_dual_mov_b32 v4, s26
	v_mov_b32_e32 v5, s27
	s_clause 0x2
	scratch_store_b128 off, v[15:18], off offset:784
	scratch_store_b128 off, v[8:11], off offset:848
	scratch_store_b32 off, v19, off offset:864
	v_dual_mov_b32 v8, 0x8000 :: v_dual_mov_b32 v9, s1
	s_mov_b32 s0, s6
	v_dual_mov_b32 v12, s3 :: v_dual_mov_b32 v11, s2
	s_clause 0x6
	scratch_store_b64 off, v[0:1], off offset:872
	scratch_store_b8 off, v0, off offset:881
	scratch_store_b64 off, v[8:9], off offset:888
	scratch_store_b8 off, v0, off offset:897
	scratch_store_b32 off, v0, off offset:912
	scratch_store_b64 off, v[11:12], off offset:904
	scratch_store_b128 off, v[2:5], off offset:916
.LBB10_12:                              ; =>This Inner Loop Header: Depth=1
	s_wait_alu 0xfffe
	s_add_co_i32 s1, s0, 0x3c0
	s_add_co_i32 s0, s0, 1
	scratch_store_b8 off, v0, s1
	s_wait_alu 0xfffe
	s_cmp_lt_u32 s0, 0x4e0
	s_cbranch_scc1 .LBB10_12
; %bb.13:
	v_and_b32_e32 v43, 15, v41
	v_lshlrev_b32_e32 v0, 2, v41
	v_lshrrev_b32_e32 v42, 7, v41
	v_bfe_u32 v12, v41, 4, 1
	s_lshl_b64 s[2:3], s[8:9], 1
	v_mov_b32_e32 v1, v43
	v_dual_mov_b32 v0, v10 :: v_dual_and_b32 v11, 64, v0
	v_lshl_or_b32 v6, v42, 4, v43
	s_mov_b32 s15, 0
	s_wait_alu 0xfffe
	s_add_nc_u64 s[20:21], s[4:5], s[2:3]
	v_lshrrev_b32_e32 v8, 4, v11
	s_mul_u64 s[18:19], s[6:7], s[14:15]
	s_mov_b32 s4, s15
	s_mov_b32 s5, s15
	;; [unrolled: 1-line block ×4, first 2 shown]
	v_lshlrev_b32_e32 v9, 1, v12
	v_lshlrev_b32_e32 v2, 7, v6
	v_xor_b32_e32 v5, v8, v7
	v_lshl_or_b32 v10, v10, 4, v43
	v_lshrrev_b32_e32 v45, 1, v11
	v_xor_b32_e32 v3, v9, v7
	v_mov_b32_e32 v7, v6
	v_lshl_or_b32 v4, v5, 4, v2
	s_mov_b64 s[0:1], src_private_base
	s_ashr_i32 s0, s12, 31
	v_lshl_or_b32 v2, v3, 4, v2
	v_add_lshl_u32 v44, v10, v45, 6
	scratch_store_b96 off, v[4:6], off offset:1984
	v_dual_mov_b32 v5, v8 :: v_dual_lshlrev_b32 v4, 5, v12
	s_clause 0x9
	scratch_store_b64 off, v[7:8], off offset:2000
	scratch_store_b32 off, v8, off offset:2012
	scratch_store_b32 off, v6, off offset:2020
	scratch_store_b64 off, v[5:6], off offset:2028
	scratch_store_b32 off, v11, off offset:2040
	scratch_store_b128 off, v[42:45], off offset:2048
	scratch_store_b32 off, v10, off offset:2064
	scratch_store_b32 off, v11, off offset:2076
	scratch_store_b128 off, v[0:3], off offset:2084
	scratch_store_b32 off, v6, off offset:2100
	v_mov_b32_e32 v0, s4
	s_wait_alu 0xfffe
	s_lshr_b32 s0, s0, 29
	v_dual_mov_b32 v8, v6 :: v_dual_mov_b32 v5, v9
	v_dual_mov_b32 v2, s6 :: v_dual_mov_b32 v1, s5
	v_mov_b32_e32 v3, s7
	s_wait_alu 0xfffe
	s_add_co_i32 s12, s12, s0
	s_clause 0x3
	scratch_store_b64 off, v[8:9], off offset:2108
	scratch_store_b32 off, v9, off offset:2120
	scratch_store_b32 off, v6, off offset:2128
	scratch_store_b64 off, v[5:6], off offset:2136
	s_wait_alu 0xfffe
	s_ashr_i32 s0, s12, 3
	s_clause 0x1f
	scratch_store_b32 off, v4, off offset:2148
	scratch_store_b64 off, v[42:43], off offset:2156
	scratch_store_b64 off, v[42:43], off offset:2168
	scratch_store_b32 off, v12, off offset:2180
	scratch_store_b128 off, v[0:3], off offset:3216
	scratch_store_b128 off, v[0:3], off offset:3200
	;; [unrolled: 1-line block ×28, first 2 shown]
	s_clause 0x1f
	scratch_store_b128 off, v[0:3], off offset:2768
	scratch_store_b128 off, v[0:3], off offset:2752
	;; [unrolled: 1-line block ×32, first 2 shown]
	s_clause 0x3
	scratch_store_b128 off, v[0:3], off offset:2256
	scratch_store_b128 off, v[0:3], off offset:2240
	;; [unrolled: 1-line block ×4, first 2 shown]
	v_dual_mov_b32 v0, 0x3c0 :: v_dual_mov_b32 v1, s1
	v_mov_b32_e32 v4, 48
	v_dual_mov_b32 v2, 0xca0 :: v_dual_mov_b32 v3, s1
	v_dual_mov_b32 v6, 0 :: v_dual_mov_b32 v5, s1
	;; [unrolled: 1-line block ×9, first 2 shown]
	s_wait_alu 0xfffe
	v_dual_mov_b32 v22, s0 :: v_dual_mov_b32 v21, s1
	s_getpc_b64 s[2:3]
	s_wait_alu 0xfffe
	s_sext_i32_i16 s3, s3
	s_add_co_u32 s2, s2, _ZNK2ck52BlockwiseGemmXdlops_pipeline_bpreshuffle_bdequant_v3ILNS_26BlockGemmPipelineSchedulerE0ELi256ENS_9f8_fnuz_tENS_7pk_i4_tES2_fNS_16TensorDescriptorINS_5TupleIJNS_5EmbedINS5_IJNS_17integral_constantIiLi8EEENS7_IiLi256EEENS7_IiLi16EEEEEENS5_IJSA_NS7_IiLi128EEENS7_IiLi1EEEEEELb0EEENS_3XorINS5_IJS9_S8_EEELb1EEENS_11PassThroughISA_EENS_7UnMergeINS5_IJS8_SD_EEELb0EEENSJ_IS9_EESK_NSJ_IS8_EENS_21Merge_v3_division_modINS5_IJS9_SD_EEEEESK_EEENS5_IJNS_8SequenceIJLi0EEEENSU_IJLi2ELi1EEEENSU_IJLi3EEEENSU_IJLi5EEEENSU_IJLi4EEEENSU_IJLi6EEEENSU_IJLi7EEEENSU_IJLi9ELi8EEEENSU_IJLi10EEEEEEENS5_IJNSU_IJLi1ELi2ELi3EEEENSU_IJLi4ELi5EEEES10_NSU_IJLi7ELi8EEEENSU_IJLi9EEEES13_NSU_IJLi11EEEENSU_IJLi12EEEENSU_IJLi13EEEEEEENSU_IJLi11ELi12ELi13EEEENS7_IlLl32768EEEEENS4_INS5_IJNSL_INS5_IJNS7_IiLi4EEESD_NS7_IiLi2EEENS7_IiLi32EEEEEELb0EEEEEENS5_IJSV_EEENS5_IJNSU_IJLi1ELi2ELi3ELi4EEEEEEES1N_NS7_IlLl256EEEEENS4_INS5_IJSF_SI_SK_SN_SO_SK_SP_SS_SK_NSQ_INS5_IJS8_SA_EEEEENSL_INS5_IJS8_S1H_SA_EEELb0EEEEEENS5_IJSV_SW_SX_SY_SZ_S10_S11_S12_S13_NSU_IJLi11ELi13EEEES1A_EEENS5_IJS15_S16_S10_S17_S18_S13_S19_S1A_S1B_NSU_IJLi14EEEENSU_IJLi15ELi16ELi17EEEEEEENSU_IJLi15ELi16ELi17ELi14EEEES1E_EENS4_INS5_IJS1K_NSQ_INS5_IJS1G_S1H_EEEEENSL_INS5_IJS1G_S1G_SA_EEELb0EEEEEENS5_IJSV_NSU_IJLi1ELi3EEEENSU_IJLi2EEEEEEENS5_IJS1N_SY_NSU_IJLi6ELi7ELi8EEEEEEENSU_IJLi6ELi7ELi8ELi5EEEES1P_EELi16ELi32ELi256ELi256ELi128ELi16ELi16ELi8ELi4ELi32ELb0EE3RunILb1ELNS_10TailNumberE0ENS4_INS5_IJNS6_INS5_IJiiEEENS5_IJiSD_EEELb0EEENSL_IS2I_Lb0EEENSJ_IiEEEEENS5_IJSV_S29_NSU_IJLi1EEEEEEENS5_IJNSU_IJLi1ELi2EEEENSU_IJLi3ELi4EEEESY_EEENSU_IJLi3ELi5ELi4EEEElEES1F_NS_35ThreadGroupTensorSliceTransfer_v4r1INS_15ThisThreadBlockILi256EEENS_16tensor_operation12element_wise11PassThroughES30_LNS_25InMemoryDataOperationEnumE0ENSU_IJLi8ELi256ELi16EEEENSU_IJLi8ELi32ELi1EEEENSU_IJLi1ELi0ELi2EEEES2_S2_RKS2U_KS1F_S34_NSU_IJLi0ELi1ELi2EEEELi2ELi2ELi16ELi16ELi1ELi1ELb0ELb1ELi2EiEENS_13DynamicBufferILNS_16AddressSpaceEnumE1EKS2_lLb1ELNS_22AmdBufferCoherenceEnumE0EiEENS5_IJNS3A_ILS3B_2ES2_S1E_Lb1ELS3D_0EiEES3F_EEENS5_IJiiiEEENS4_INS5_IJNS6_INS5_IJiiiiEEENS5_IJiiiSD_EEELb0EEEEEES1M_S1O_S1N_lEENS_32ThreadwiseTensorSliceTransfer_v2IS3_S3_RKS3M_KS1Q_NSU_IJLi4ELi1ELi2ELi32EEEENSU_IJLi1ELi2ELi0ELi3EEEELi3ELi32ELi0ELb1ELb0ELb0EEENS3A_ILS3B_1EKS3_lLb1ELS3D_0EiEENS5_IJNS_12StaticBufferILS3B_4ES3_Li256ELb1EEES3X_EEES3I_NS_25StaticBufferTupleOfVectorILS3B_4EfLi32ELi8ELb1ELb0EEEEEvRKT1_RKT2_RT3_RKT4_RT5_RKT6_RKT7_RT8_RKT9_RT10_RKT11_RT12_i@rel32@lo+12
	s_wait_alu 0xfffe
	s_add_co_ci_u32 s3, s3, _ZNK2ck52BlockwiseGemmXdlops_pipeline_bpreshuffle_bdequant_v3ILNS_26BlockGemmPipelineSchedulerE0ELi256ENS_9f8_fnuz_tENS_7pk_i4_tES2_fNS_16TensorDescriptorINS_5TupleIJNS_5EmbedINS5_IJNS_17integral_constantIiLi8EEENS7_IiLi256EEENS7_IiLi16EEEEEENS5_IJSA_NS7_IiLi128EEENS7_IiLi1EEEEEELb0EEENS_3XorINS5_IJS9_S8_EEELb1EEENS_11PassThroughISA_EENS_7UnMergeINS5_IJS8_SD_EEELb0EEENSJ_IS9_EESK_NSJ_IS8_EENS_21Merge_v3_division_modINS5_IJS9_SD_EEEEESK_EEENS5_IJNS_8SequenceIJLi0EEEENSU_IJLi2ELi1EEEENSU_IJLi3EEEENSU_IJLi5EEEENSU_IJLi4EEEENSU_IJLi6EEEENSU_IJLi7EEEENSU_IJLi9ELi8EEEENSU_IJLi10EEEEEEENS5_IJNSU_IJLi1ELi2ELi3EEEENSU_IJLi4ELi5EEEES10_NSU_IJLi7ELi8EEEENSU_IJLi9EEEES13_NSU_IJLi11EEEENSU_IJLi12EEEENSU_IJLi13EEEEEEENSU_IJLi11ELi12ELi13EEEENS7_IlLl32768EEEEENS4_INS5_IJNSL_INS5_IJNS7_IiLi4EEESD_NS7_IiLi2EEENS7_IiLi32EEEEEELb0EEEEEENS5_IJSV_EEENS5_IJNSU_IJLi1ELi2ELi3ELi4EEEEEEES1N_NS7_IlLl256EEEEENS4_INS5_IJSF_SI_SK_SN_SO_SK_SP_SS_SK_NSQ_INS5_IJS8_SA_EEEEENSL_INS5_IJS8_S1H_SA_EEELb0EEEEEENS5_IJSV_SW_SX_SY_SZ_S10_S11_S12_S13_NSU_IJLi11ELi13EEEES1A_EEENS5_IJS15_S16_S10_S17_S18_S13_S19_S1A_S1B_NSU_IJLi14EEEENSU_IJLi15ELi16ELi17EEEEEEENSU_IJLi15ELi16ELi17ELi14EEEES1E_EENS4_INS5_IJS1K_NSQ_INS5_IJS1G_S1H_EEEEENSL_INS5_IJS1G_S1G_SA_EEELb0EEEEEENS5_IJSV_NSU_IJLi1ELi3EEEENSU_IJLi2EEEEEEENS5_IJS1N_SY_NSU_IJLi6ELi7ELi8EEEEEEENSU_IJLi6ELi7ELi8ELi5EEEES1P_EELi16ELi32ELi256ELi256ELi128ELi16ELi16ELi8ELi4ELi32ELb0EE3RunILb1ELNS_10TailNumberE0ENS4_INS5_IJNS6_INS5_IJiiEEENS5_IJiSD_EEELb0EEENSL_IS2I_Lb0EEENSJ_IiEEEEENS5_IJSV_S29_NSU_IJLi1EEEEEEENS5_IJNSU_IJLi1ELi2EEEENSU_IJLi3ELi4EEEESY_EEENSU_IJLi3ELi5ELi4EEEElEES1F_NS_35ThreadGroupTensorSliceTransfer_v4r1INS_15ThisThreadBlockILi256EEENS_16tensor_operation12element_wise11PassThroughES30_LNS_25InMemoryDataOperationEnumE0ENSU_IJLi8ELi256ELi16EEEENSU_IJLi8ELi32ELi1EEEENSU_IJLi1ELi0ELi2EEEES2_S2_RKS2U_KS1F_S34_NSU_IJLi0ELi1ELi2EEEELi2ELi2ELi16ELi16ELi1ELi1ELb0ELb1ELi2EiEENS_13DynamicBufferILNS_16AddressSpaceEnumE1EKS2_lLb1ELNS_22AmdBufferCoherenceEnumE0EiEENS5_IJNS3A_ILS3B_2ES2_S1E_Lb1ELS3D_0EiEES3F_EEENS5_IJiiiEEENS4_INS5_IJNS6_INS5_IJiiiiEEENS5_IJiiiSD_EEELb0EEEEEES1M_S1O_S1N_lEENS_32ThreadwiseTensorSliceTransfer_v2IS3_S3_RKS3M_KS1Q_NSU_IJLi4ELi1ELi2ELi32EEEENSU_IJLi1ELi2ELi0ELi3EEEELi3ELi32ELi0ELb1ELb0ELb0EEENS3A_ILS3B_1EKS3_lLb1ELS3D_0EiEENS5_IJNS_12StaticBufferILS3B_4ES3_Li256ELb1EEES3X_EEES3I_NS_25StaticBufferTupleOfVectorILS3B_4EfLi32ELi8ELb1ELb0EEEEEvRKT1_RKT2_RT3_RKT4_RT5_RKT6_RKT7_RT8_RKT9_RT10_RKT11_RT12_i@rel32@hi+24
	s_wait_alu 0xfffe
	s_swappc_b64 s[30:31], s[2:3]
	s_wait_dscnt 0x0
	s_barrier_signal -1
	s_barrier_wait -1
	s_clause 0x1
	scratch_load_b128 v[3:6], off, off offset:2208
	scratch_load_b128 v[7:10], off, off offset:2224
	v_lshrrev_b32_e32 v0, 1, v41
	v_lshlrev_b32_e32 v1, 3, v41
	v_lshrrev_b32_e32 v12, 3, v41
	v_and_b32_e32 v13, 0x60, v41
	v_lshlrev_b32_e32 v14, 1, v43
	v_and_b32_e32 v0, 8, v0
	v_and_b32_e32 v1, 56, v1
	v_lshl_or_b32 v2, s23, 8, v12
	s_and_b32 s21, s21, 0xffff
	s_mov_b32 s23, 0x31004000
	v_and_or_b32 v0, v12, 16, v0
	v_lshlrev_b32_e32 v15, 1, v1
	v_lshl_or_b32 v11, s22, 8, v1
	v_cmp_gt_i32_e64 s7, s16, v2
	s_lshl_b32 s9, s14, 5
	v_lshlrev_b32_e32 v1, 7, v0
	v_lshl_or_b32 v0, v12, 7, v15
	v_or_b32_e32 v12, 4, v11
	v_cmp_gt_i32_e64 s0, s17, v11
	v_or_b32_e32 v22, 0x60, v2
	v_or3_b32 v1, v13, v1, v14
	v_or_b32_e32 v13, 64, v11
	v_mad_co_u64_u32 v[15:16], null, v2, s14, v[11:12]
	v_cmp_gt_i32_e32 vcc_lo, s17, v12
	s_and_b32 s1, s7, s0
	v_or_b32_e32 v14, 0x44, v11
	v_cmp_gt_i32_e64 s2, s17, v13
	v_or_b32_e32 v13, 0x80, v11
	v_or_b32_e32 v16, 64, v2
	v_lshlrev_b32_e32 v12, 1, v15
	s_and_b32 s3, s7, s2
	s_delay_alu instid0(VALU_DEP_3) | instskip(SKIP_2) | instid1(VALU_DEP_1)
	v_cmp_gt_i32_e64 s4, s17, v13
	v_or_b32_e32 v13, 0xc0, v11
	s_and_b32 s5, s7, s4
	v_cmp_gt_i32_e64 s6, s17, v13
	s_and_b32 s8, s7, s6
	s_wait_loadcnt 0x1
	v_cvt_f16_f32_e32 v3, v3
	v_cvt_f16_f32_e32 v4, v4
	;; [unrolled: 1-line block ×4, first 2 shown]
	s_wait_loadcnt 0x0
	v_cvt_f16_f32_e32 v7, v7
	v_cvt_f16_f32_e32 v8, v8
	;; [unrolled: 1-line block ×4, first 2 shown]
	ds_store_b16 v1, v3
	ds_store_b16 v1, v4 offset:128
	ds_store_b16 v1, v5 offset:256
	ds_store_b16 v1, v6 offset:384
	ds_store_b16 v1, v7 offset:512
	ds_store_b16 v1, v8 offset:640
	ds_store_b16 v1, v9 offset:768
	ds_store_b16 v1, v10 offset:896
	s_wait_dscnt 0x0
	s_barrier_signal -1
	s_barrier_wait -1
	ds_load_b128 v[3:6], v0
	s_wait_alu 0xfffe
	v_cndmask_b32_e64 v7, 0x80000000, 0, s1
	s_and_b32 s1, s7, vcc_lo
	s_wait_alu 0xfffe
	v_cndmask_b32_e64 v8, 0x80000000, 0, s1
	s_add_co_i32 s1, s17, s19
	v_add_nc_u32_e32 v7, v7, v12
	s_wait_alu 0xfffe
	s_lshl_b32 s22, s1, 1
	v_cmp_gt_i32_e64 s1, s17, v14
	v_add_nc_u32_e32 v8, v12, v8
	s_wait_dscnt 0x0
	s_clause 0x1
	buffer_store_b64 v[3:4], v7, s[20:23], null offen
	buffer_store_b64 v[5:6], v8, s[20:23], null offen offset:8
	s_wait_dscnt 0x0
	s_barrier_signal -1
	s_barrier_wait -1
	s_clause 0x1
	scratch_load_b128 v[3:6], off, off offset:2240
	scratch_load_b128 v[7:10], off, off offset:2256
	v_or_b32_e32 v14, 0x84, v11
	v_or_b32_e32 v11, 0xc4, v11
	s_wait_loadcnt 0x1
	v_cvt_f16_f32_e32 v3, v3
	v_cvt_f16_f32_e32 v4, v4
	;; [unrolled: 1-line block ×4, first 2 shown]
	s_wait_loadcnt 0x0
	v_cvt_f16_f32_e32 v7, v7
	v_cvt_f16_f32_e32 v8, v8
	;; [unrolled: 1-line block ×4, first 2 shown]
	ds_store_b16 v1, v3
	ds_store_b16 v1, v4 offset:128
	ds_store_b16 v1, v5 offset:256
	;; [unrolled: 1-line block ×7, first 2 shown]
	s_wait_dscnt 0x0
	s_barrier_signal -1
	s_barrier_wait -1
	ds_load_b128 v[3:6], v0
	v_cndmask_b32_e64 v7, 0x80000000, 0, s3
	s_and_b32 s3, s7, s1
	s_wait_alu 0xfffe
	v_cndmask_b32_e64 v8, 0x80000000, 0, s3
	v_cmp_gt_i32_e64 s3, s17, v14
	v_add_nc_u32_e32 v7, v12, v7
	s_delay_alu instid0(VALU_DEP_3)
	v_add_nc_u32_e32 v8, v12, v8
	s_wait_dscnt 0x0
	s_clause 0x1
	buffer_store_b64 v[3:4], v7, s[20:23], null offen offset:128
	buffer_store_b64 v[5:6], v8, s[20:23], null offen offset:136
	s_wait_dscnt 0x0
	s_barrier_signal -1
	s_barrier_wait -1
	s_clause 0x1
	scratch_load_b128 v[3:6], off, off offset:2272
	scratch_load_b128 v[7:10], off, off offset:2288
	s_wait_loadcnt 0x1
	v_cvt_f16_f32_e32 v3, v3
	v_cvt_f16_f32_e32 v4, v4
	;; [unrolled: 1-line block ×4, first 2 shown]
	s_wait_loadcnt 0x0
	v_cvt_f16_f32_e32 v7, v7
	v_cvt_f16_f32_e32 v8, v8
	;; [unrolled: 1-line block ×4, first 2 shown]
	ds_store_b16 v1, v3
	ds_store_b16 v1, v4 offset:128
	ds_store_b16 v1, v5 offset:256
	;; [unrolled: 1-line block ×7, first 2 shown]
	s_wait_dscnt 0x0
	s_barrier_signal -1
	s_barrier_wait -1
	ds_load_b128 v[3:6], v0
	v_cndmask_b32_e64 v7, 0x80000000, 0, s5
	s_and_b32 s5, s7, s3
	s_wait_alu 0xfffe
	v_cndmask_b32_e64 v8, 0x80000000, 0, s5
	v_cmp_gt_i32_e64 s5, s17, v11
	v_add_nc_u32_e32 v7, v12, v7
	v_add_nc_u32_e32 v11, 0xc0, v15
	;; [unrolled: 1-line block ×4, first 2 shown]
	s_wait_dscnt 0x0
	s_clause 0x1
	buffer_store_b64 v[3:4], v7, s[20:23], null offen offset:256
	buffer_store_b64 v[5:6], v8, s[20:23], null offen offset:264
	s_wait_dscnt 0x0
	s_barrier_signal -1
	s_barrier_wait -1
	s_clause 0x1
	scratch_load_b128 v[3:6], off, off offset:2304
	scratch_load_b128 v[7:10], off, off offset:2320
	s_and_b32 s7, s7, s5
	v_add_lshl_u32 v13, v11, s9, 1
	v_add_nc_u32_e32 v20, s9, v15
	s_delay_alu instid0(VALU_DEP_1)
	v_lshlrev_b32_e32 v19, 1, v20
	v_add_nc_u32_e32 v21, 0xc0, v20
	v_add_nc_u32_e32 v20, s9, v20
	s_wait_loadcnt 0x1
	v_cvt_f16_f32_e32 v3, v3
	v_cvt_f16_f32_e32 v4, v4
	;; [unrolled: 1-line block ×4, first 2 shown]
	s_wait_loadcnt 0x0
	v_cvt_f16_f32_e32 v7, v7
	v_cvt_f16_f32_e32 v8, v8
	;; [unrolled: 1-line block ×4, first 2 shown]
	ds_store_b16 v1, v3
	ds_store_b16 v1, v4 offset:128
	ds_store_b16 v1, v5 offset:256
	;; [unrolled: 1-line block ×7, first 2 shown]
	s_wait_dscnt 0x0
	s_barrier_signal -1
	s_barrier_wait -1
	ds_load_b128 v[3:6], v0
	v_cndmask_b32_e64 v7, 0x80000000, 0, s8
	s_wait_alu 0xfffe
	v_cndmask_b32_e64 v8, 0x80000000, 0, s7
	s_delay_alu instid0(VALU_DEP_2) | instskip(NEXT) | instid1(VALU_DEP_2)
	v_lshl_add_u32 v7, v11, 1, v7
	v_add_nc_u32_e32 v8, v12, v8
	s_wait_dscnt 0x0
	s_clause 0x1
	buffer_store_b64 v[3:4], v7, s[20:23], null offen
	buffer_store_b64 v[5:6], v8, s[20:23], null offen offset:392
	s_wait_dscnt 0x0
	s_barrier_signal -1
	s_barrier_wait -1
	s_clause 0x1
	scratch_load_b128 v[3:6], off, off offset:2432
	scratch_load_b128 v[7:10], off, off offset:2448
	v_or_b32_e32 v12, 32, v2
	s_delay_alu instid0(VALU_DEP_1)
	v_cmp_gt_i32_e64 s7, s16, v12
	s_and_b32 s8, s7, s6
	s_wait_loadcnt 0x1
	v_cvt_f16_f32_e32 v3, v3
	v_cvt_f16_f32_e32 v4, v4
	;; [unrolled: 1-line block ×4, first 2 shown]
	s_wait_loadcnt 0x0
	v_cvt_f16_f32_e32 v7, v7
	v_cvt_f16_f32_e32 v8, v8
	v_cvt_f16_f32_e32 v9, v9
	v_cvt_f16_f32_e32 v10, v10
	ds_store_b16 v1, v3
	ds_store_b16 v1, v4 offset:128
	ds_store_b16 v1, v5 offset:256
	;; [unrolled: 1-line block ×7, first 2 shown]
	s_wait_dscnt 0x0
	s_barrier_signal -1
	s_barrier_wait -1
	ds_load_b128 v[3:6], v0
	s_wait_alu 0xfffe
	v_cndmask_b32_e64 v7, 0x80000000, 0, s8
	s_and_b32 s8, s7, s5
	s_wait_alu 0xfffe
	v_cndmask_b32_e64 v8, 0x80000008, 8, s8
	s_and_b32 s8, s7, s4
	v_add_nc_u32_e32 v7, v13, v7
	s_delay_alu instid0(VALU_DEP_2)
	v_add_nc_u32_e32 v8, v13, v8
	s_wait_dscnt 0x0
	s_clause 0x1
	buffer_store_b64 v[3:4], v7, s[20:23], null offen
	buffer_store_b64 v[5:6], v8, s[20:23], null offen
	s_wait_dscnt 0x0
	s_barrier_signal -1
	s_barrier_wait -1
	s_clause 0x1
	scratch_load_b128 v[3:6], off, off offset:2400
	scratch_load_b128 v[7:10], off, off offset:2416
	s_wait_loadcnt 0x1
	v_cvt_f16_f32_e32 v3, v3
	v_cvt_f16_f32_e32 v4, v4
	;; [unrolled: 1-line block ×4, first 2 shown]
	s_wait_loadcnt 0x0
	v_cvt_f16_f32_e32 v7, v7
	v_cvt_f16_f32_e32 v8, v8
	;; [unrolled: 1-line block ×4, first 2 shown]
	ds_store_b16 v1, v3
	ds_store_b16 v1, v4 offset:128
	ds_store_b16 v1, v5 offset:256
	;; [unrolled: 1-line block ×7, first 2 shown]
	s_wait_dscnt 0x0
	s_barrier_signal -1
	s_barrier_wait -1
	ds_load_b128 v[5:8], v0
	v_mov_b32_e32 v3, 0xffffff80
	v_mov_b32_e32 v4, 0xffffff88
	s_delay_alu instid0(VALU_DEP_2) | instskip(SKIP_2) | instid1(VALU_DEP_2)
	v_cndmask_b32_e64 v9, 0x7fffff80, v3, s8
	s_and_b32 s8, s7, s3
	s_wait_alu 0xfffe
	v_cndmask_b32_e64 v10, 0x7fffff88, v4, s8
	s_and_b32 s8, s7, s2
	v_add_nc_u32_e32 v9, v13, v9
	s_delay_alu instid0(VALU_DEP_2)
	v_add_nc_u32_e32 v10, v13, v10
	s_wait_dscnt 0x0
	s_clause 0x1
	buffer_store_b64 v[5:6], v9, s[20:23], null offen
	buffer_store_b64 v[7:8], v10, s[20:23], null offen
	s_wait_dscnt 0x0
	s_barrier_signal -1
	s_barrier_wait -1
	s_clause 0x1
	scratch_load_b128 v[5:8], off, off offset:2368
	scratch_load_b128 v[9:12], off, off offset:2384
	s_wait_loadcnt 0x1
	v_cvt_f16_f32_e32 v5, v5
	v_cvt_f16_f32_e32 v6, v6
	v_cvt_f16_f32_e32 v7, v7
	v_cvt_f16_f32_e32 v8, v8
	s_wait_loadcnt 0x0
	v_cvt_f16_f32_e32 v9, v9
	v_cvt_f16_f32_e32 v10, v10
	;; [unrolled: 1-line block ×4, first 2 shown]
	ds_store_b16 v1, v5
	ds_store_b16 v1, v6 offset:128
	ds_store_b16 v1, v7 offset:256
	;; [unrolled: 1-line block ×7, first 2 shown]
	s_wait_dscnt 0x0
	s_barrier_signal -1
	s_barrier_wait -1
	ds_load_b128 v[7:10], v0
	v_mov_b32_e32 v5, 0xffffff00
	v_mov_b32_e32 v6, 0xffffff08
	s_delay_alu instid0(VALU_DEP_2) | instskip(SKIP_2) | instid1(VALU_DEP_2)
	v_cndmask_b32_e64 v11, 0x7fffff00, v5, s8
	s_and_b32 s8, s7, s1
	s_wait_alu 0xfffe
	v_cndmask_b32_e64 v12, 0x7fffff08, v6, s8
	s_and_b32 s8, s0, s7
	v_add_nc_u32_e32 v11, v13, v11
	s_and_b32 s7, s7, vcc_lo
	s_delay_alu instid0(VALU_DEP_2)
	v_add_nc_u32_e32 v12, v13, v12
	s_wait_dscnt 0x0
	s_clause 0x1
	buffer_store_b64 v[7:8], v11, s[20:23], null offen
	buffer_store_b64 v[9:10], v12, s[20:23], null offen
	s_wait_dscnt 0x0
	s_barrier_signal -1
	s_barrier_wait -1
	s_clause 0x1
	scratch_load_b128 v[7:10], off, off offset:2336
	scratch_load_b128 v[11:14], off, off offset:2352
	s_wait_loadcnt 0x1
	v_cvt_f16_f32_e32 v7, v7
	v_cvt_f16_f32_e32 v8, v8
	;; [unrolled: 1-line block ×4, first 2 shown]
	s_wait_loadcnt 0x0
	v_cvt_f16_f32_e32 v11, v11
	v_cvt_f16_f32_e32 v12, v12
	;; [unrolled: 1-line block ×4, first 2 shown]
	ds_store_b16 v1, v7
	ds_store_b16 v1, v8 offset:128
	ds_store_b16 v1, v9 offset:256
	;; [unrolled: 1-line block ×7, first 2 shown]
	s_wait_dscnt 0x0
	s_barrier_signal -1
	s_barrier_wait -1
	ds_load_b128 v[7:10], v0
	v_cndmask_b32_e64 v11, 0x80000000, 0, s8
	v_lshlrev_b32_e32 v12, 1, v15
	v_cndmask_b32_e64 v13, 0x80000000, 0, s7
	v_cmp_gt_i32_e64 s7, s16, v16
	s_delay_alu instid0(VALU_DEP_3) | instskip(NEXT) | instid1(VALU_DEP_3)
	v_add_nc_u32_e32 v11, v11, v12
	v_add_nc_u32_e32 v12, v12, v13
	s_wait_dscnt 0x0
	s_clause 0x1
	buffer_store_b64 v[7:8], v11, s[20:23], null offen
	buffer_store_b64 v[9:10], v12, s[20:23], null offen offset:8
	s_wait_dscnt 0x0
	s_barrier_signal -1
	s_barrier_wait -1
	s_clause 0x1
	scratch_load_b128 v[7:10], off, off offset:2464
	scratch_load_b128 v[11:14], off, off offset:2480
	s_and_b32 s8, s0, s7
	s_wait_loadcnt 0x1
	v_cvt_f16_f32_e32 v7, v7
	v_cvt_f16_f32_e32 v8, v8
	;; [unrolled: 1-line block ×4, first 2 shown]
	s_wait_loadcnt 0x0
	v_cvt_f16_f32_e32 v11, v11
	v_cvt_f16_f32_e32 v12, v12
	;; [unrolled: 1-line block ×4, first 2 shown]
	ds_store_b16 v1, v7
	ds_store_b16 v1, v8 offset:128
	ds_store_b16 v1, v9 offset:256
	;; [unrolled: 1-line block ×7, first 2 shown]
	s_wait_dscnt 0x0
	s_barrier_signal -1
	s_barrier_wait -1
	ds_load_b128 v[7:10], v0
	s_wait_alu 0xfffe
	v_cndmask_b32_e64 v11, 0x80000000, 0, s8
	s_and_b32 s8, s7, vcc_lo
	s_wait_alu 0xfffe
	v_cndmask_b32_e64 v12, 0x80000008, 8, s8
	s_and_b32 s8, s7, s2
	v_add_nc_u32_e32 v11, v19, v11
	s_delay_alu instid0(VALU_DEP_2)
	v_add_nc_u32_e32 v12, v19, v12
	s_wait_dscnt 0x0
	s_clause 0x1
	buffer_store_b64 v[7:8], v11, s[20:23], null offen
	buffer_store_b64 v[9:10], v12, s[20:23], null offen
	s_wait_dscnt 0x0
	s_barrier_signal -1
	s_barrier_wait -1
	s_clause 0x1
	scratch_load_b128 v[7:10], off, off offset:2496
	scratch_load_b128 v[11:14], off, off offset:2512
	s_wait_loadcnt 0x1
	v_cvt_f16_f32_e32 v7, v7
	v_cvt_f16_f32_e32 v8, v8
	;; [unrolled: 1-line block ×4, first 2 shown]
	s_wait_loadcnt 0x0
	v_cvt_f16_f32_e32 v11, v11
	v_cvt_f16_f32_e32 v12, v12
	;; [unrolled: 1-line block ×4, first 2 shown]
	ds_store_b16 v1, v7
	ds_store_b16 v1, v8 offset:128
	ds_store_b16 v1, v9 offset:256
	;; [unrolled: 1-line block ×7, first 2 shown]
	s_wait_dscnt 0x0
	s_barrier_signal -1
	s_barrier_wait -1
	ds_load_b128 v[9:12], v0
	v_mov_b32_e32 v7, 0x80
	v_mov_b32_e32 v8, 0x88
	s_delay_alu instid0(VALU_DEP_2) | instskip(SKIP_2) | instid1(VALU_DEP_2)
	v_cndmask_b32_e64 v13, 0x80000080, v7, s8
	s_and_b32 s8, s7, s1
	s_wait_alu 0xfffe
	v_cndmask_b32_e64 v14, 0x80000088, v8, s8
	s_and_b32 s8, s7, s4
	v_add_nc_u32_e32 v13, v19, v13
	s_delay_alu instid0(VALU_DEP_2)
	v_add_nc_u32_e32 v14, v19, v14
	s_wait_dscnt 0x0
	s_clause 0x1
	buffer_store_b64 v[9:10], v13, s[20:23], null offen
	buffer_store_b64 v[11:12], v14, s[20:23], null offen
	s_wait_dscnt 0x0
	s_barrier_signal -1
	s_barrier_wait -1
	s_clause 0x1
	scratch_load_b128 v[9:12], off, off offset:2528
	scratch_load_b128 v[13:16], off, off offset:2544
	s_wait_loadcnt 0x1
	v_cvt_f16_f32_e32 v9, v9
	v_cvt_f16_f32_e32 v10, v10
	;; [unrolled: 1-line block ×4, first 2 shown]
	s_wait_loadcnt 0x0
	v_cvt_f16_f32_e32 v13, v13
	v_cvt_f16_f32_e32 v14, v14
	;; [unrolled: 1-line block ×4, first 2 shown]
	ds_store_b16 v1, v9
	ds_store_b16 v1, v10 offset:128
	ds_store_b16 v1, v11 offset:256
	;; [unrolled: 1-line block ×7, first 2 shown]
	s_wait_dscnt 0x0
	s_barrier_signal -1
	s_barrier_wait -1
	ds_load_b128 v[11:14], v0
	v_mov_b32_e32 v9, 0x100
	v_mov_b32_e32 v10, 0x108
	s_delay_alu instid0(VALU_DEP_2) | instskip(SKIP_2) | instid1(VALU_DEP_2)
	v_cndmask_b32_e64 v15, 0x80000100, v9, s8
	s_and_b32 s8, s7, s3
	s_wait_alu 0xfffe
	v_cndmask_b32_e64 v16, 0x80000108, v10, s8
	s_and_b32 s8, s7, s6
	v_add_nc_u32_e32 v15, v19, v15
	s_and_b32 s7, s7, s5
	s_delay_alu instid0(VALU_DEP_2)
	v_add_nc_u32_e32 v16, v19, v16
	s_wait_dscnt 0x0
	s_clause 0x1
	buffer_store_b64 v[11:12], v15, s[20:23], null offen
	buffer_store_b64 v[13:14], v16, s[20:23], null offen
	s_wait_dscnt 0x0
	s_barrier_signal -1
	s_barrier_wait -1
	s_clause 0x1
	scratch_load_b128 v[11:14], off, off offset:2560
	scratch_load_b128 v[15:18], off, off offset:2576
	s_wait_loadcnt 0x1
	v_cvt_f16_f32_e32 v11, v11
	v_cvt_f16_f32_e32 v12, v12
	;; [unrolled: 1-line block ×4, first 2 shown]
	s_wait_loadcnt 0x0
	v_cvt_f16_f32_e32 v15, v15
	v_cvt_f16_f32_e32 v16, v16
	;; [unrolled: 1-line block ×4, first 2 shown]
	ds_store_b16 v1, v11
	ds_store_b16 v1, v12 offset:128
	ds_store_b16 v1, v13 offset:256
	ds_store_b16 v1, v14 offset:384
	ds_store_b16 v1, v15 offset:512
	ds_store_b16 v1, v16 offset:640
	ds_store_b16 v1, v17 offset:768
	ds_store_b16 v1, v18 offset:896
	s_wait_dscnt 0x0
	s_barrier_signal -1
	s_barrier_wait -1
	ds_load_b128 v[12:15], v0
	v_mov_b32_e32 v11, 0x188
	v_cndmask_b32_e64 v16, 0x80000000, 0, s8
	s_delay_alu instid0(VALU_DEP_2) | instskip(NEXT) | instid1(VALU_DEP_2)
	v_cndmask_b32_e64 v17, 0x80000188, v11, s7
	v_lshl_add_u32 v16, v21, 1, v16
	v_cmp_gt_i32_e64 s7, s16, v22
	v_add_lshl_u32 v21, v21, s9, 1
	s_delay_alu instid0(VALU_DEP_4)
	v_add_nc_u32_e32 v17, v19, v17
	s_wait_dscnt 0x0
	s_clause 0x1
	buffer_store_b64 v[12:13], v16, s[20:23], null offen
	buffer_store_b64 v[14:15], v17, s[20:23], null offen
	s_wait_dscnt 0x0
	s_barrier_signal -1
	s_barrier_wait -1
	s_clause 0x1
	scratch_load_b128 v[12:15], off, off offset:2688
	scratch_load_b128 v[16:19], off, off offset:2704
	s_and_b32 s8, s7, s6
	s_wait_loadcnt 0x1
	v_cvt_f16_f32_e32 v12, v12
	v_cvt_f16_f32_e32 v13, v13
	;; [unrolled: 1-line block ×4, first 2 shown]
	s_wait_loadcnt 0x0
	v_cvt_f16_f32_e32 v16, v16
	v_cvt_f16_f32_e32 v17, v17
	;; [unrolled: 1-line block ×4, first 2 shown]
	ds_store_b16 v1, v12
	ds_store_b16 v1, v13 offset:128
	ds_store_b16 v1, v14 offset:256
	;; [unrolled: 1-line block ×7, first 2 shown]
	s_wait_dscnt 0x0
	s_barrier_signal -1
	s_barrier_wait -1
	ds_load_b128 v[12:15], v0
	s_wait_alu 0xfffe
	v_cndmask_b32_e64 v16, 0x80000000, 0, s8
	s_and_b32 s8, s7, s5
	s_wait_alu 0xfffe
	v_cndmask_b32_e64 v17, 0x80000008, 8, s8
	s_and_b32 s8, s7, s4
	v_add_nc_u32_e32 v16, v21, v16
	s_delay_alu instid0(VALU_DEP_2)
	v_add_nc_u32_e32 v17, v21, v17
	s_wait_dscnt 0x0
	s_clause 0x1
	buffer_store_b64 v[12:13], v16, s[20:23], null offen
	buffer_store_b64 v[14:15], v17, s[20:23], null offen
	s_wait_dscnt 0x0
	s_barrier_signal -1
	s_barrier_wait -1
	s_clause 0x1
	scratch_load_b128 v[12:15], off, off offset:2656
	scratch_load_b128 v[16:19], off, off offset:2672
	s_wait_loadcnt 0x1
	v_cvt_f16_f32_e32 v12, v12
	v_cvt_f16_f32_e32 v13, v13
	;; [unrolled: 1-line block ×4, first 2 shown]
	s_wait_loadcnt 0x0
	v_cvt_f16_f32_e32 v16, v16
	v_cvt_f16_f32_e32 v17, v17
	;; [unrolled: 1-line block ×4, first 2 shown]
	ds_store_b16 v1, v12
	ds_store_b16 v1, v13 offset:128
	ds_store_b16 v1, v14 offset:256
	;; [unrolled: 1-line block ×7, first 2 shown]
	s_wait_dscnt 0x0
	s_barrier_signal -1
	s_barrier_wait -1
	ds_load_b128 v[12:15], v0
	v_cndmask_b32_e64 v16, 0x7fffff80, v3, s8
	s_and_b32 s8, s7, s3
	s_wait_alu 0xfffe
	v_cndmask_b32_e64 v17, 0x7fffff88, v4, s8
	s_and_b32 s8, s7, s2
	v_add_nc_u32_e32 v16, v21, v16
	s_delay_alu instid0(VALU_DEP_2)
	v_add_nc_u32_e32 v17, v21, v17
	s_wait_dscnt 0x0
	s_clause 0x1
	buffer_store_b64 v[12:13], v16, s[20:23], null offen
	buffer_store_b64 v[14:15], v17, s[20:23], null offen
	s_wait_dscnt 0x0
	s_barrier_signal -1
	s_barrier_wait -1
	s_clause 0x1
	scratch_load_b128 v[12:15], off, off offset:2624
	scratch_load_b128 v[16:19], off, off offset:2640
	s_wait_loadcnt 0x1
	v_cvt_f16_f32_e32 v12, v12
	v_cvt_f16_f32_e32 v13, v13
	;; [unrolled: 1-line block ×4, first 2 shown]
	s_wait_loadcnt 0x0
	v_cvt_f16_f32_e32 v16, v16
	v_cvt_f16_f32_e32 v17, v17
	;; [unrolled: 1-line block ×4, first 2 shown]
	ds_store_b16 v1, v12
	ds_store_b16 v1, v13 offset:128
	ds_store_b16 v1, v14 offset:256
	;; [unrolled: 1-line block ×7, first 2 shown]
	s_wait_dscnt 0x0
	s_barrier_signal -1
	s_barrier_wait -1
	ds_load_b128 v[12:15], v0
	v_cndmask_b32_e64 v16, 0x7fffff00, v5, s8
	s_and_b32 s8, s7, s1
	s_wait_alu 0xfffe
	v_cndmask_b32_e64 v17, 0x7fffff08, v6, s8
	s_and_b32 s8, s0, s7
	v_add_nc_u32_e32 v16, v21, v16
	s_and_b32 s7, s7, vcc_lo
	s_delay_alu instid0(VALU_DEP_2)
	v_add_nc_u32_e32 v17, v21, v17
	s_wait_dscnt 0x0
	s_clause 0x1
	buffer_store_b64 v[12:13], v16, s[20:23], null offen
	buffer_store_b64 v[14:15], v17, s[20:23], null offen
	s_wait_dscnt 0x0
	s_barrier_signal -1
	s_barrier_wait -1
	s_clause 0x1
	scratch_load_b128 v[12:15], off, off offset:2592
	scratch_load_b128 v[16:19], off, off offset:2608
	v_or_b32_e32 v21, 0x80, v2
	s_wait_loadcnt 0x1
	v_cvt_f16_f32_e32 v12, v12
	v_cvt_f16_f32_e32 v13, v13
	;; [unrolled: 1-line block ×4, first 2 shown]
	s_wait_loadcnt 0x0
	v_cvt_f16_f32_e32 v16, v16
	v_cvt_f16_f32_e32 v17, v17
	;; [unrolled: 1-line block ×4, first 2 shown]
	ds_store_b16 v1, v12
	ds_store_b16 v1, v13 offset:128
	ds_store_b16 v1, v14 offset:256
	;; [unrolled: 1-line block ×7, first 2 shown]
	s_wait_dscnt 0x0
	s_barrier_signal -1
	s_barrier_wait -1
	ds_load_b128 v[12:15], v0
	v_cndmask_b32_e64 v16, 0x80000000, 0, s8
	v_lshlrev_b32_e32 v17, 1, v20
	v_cndmask_b32_e64 v18, 0x80000008, 8, s7
	v_cmp_gt_i32_e64 s7, s16, v21
	v_add_nc_u32_e32 v20, s9, v20
	s_delay_alu instid0(VALU_DEP_4) | instskip(NEXT) | instid1(VALU_DEP_4)
	v_add_nc_u32_e32 v16, v17, v16
	v_add_nc_u32_e32 v17, v17, v18
	s_wait_dscnt 0x0
	s_clause 0x1
	buffer_store_b64 v[12:13], v16, s[20:23], null offen
	buffer_store_b64 v[14:15], v17, s[20:23], null offen
	s_wait_dscnt 0x0
	s_barrier_signal -1
	s_barrier_wait -1
	s_clause 0x1
	scratch_load_b128 v[12:15], off, off offset:2720
	scratch_load_b128 v[16:19], off, off offset:2736
	s_and_b32 s8, s0, s7
	v_lshlrev_b32_e32 v21, 1, v20
	v_add_nc_u32_e32 v22, 0xc0, v20
	v_add_nc_u32_e32 v20, s9, v20
	s_wait_loadcnt 0x1
	v_cvt_f16_f32_e32 v12, v12
	v_cvt_f16_f32_e32 v13, v13
	;; [unrolled: 1-line block ×4, first 2 shown]
	s_wait_loadcnt 0x0
	v_cvt_f16_f32_e32 v16, v16
	v_cvt_f16_f32_e32 v17, v17
	;; [unrolled: 1-line block ×4, first 2 shown]
	ds_store_b16 v1, v12
	ds_store_b16 v1, v13 offset:128
	ds_store_b16 v1, v14 offset:256
	;; [unrolled: 1-line block ×7, first 2 shown]
	s_wait_dscnt 0x0
	s_barrier_signal -1
	s_barrier_wait -1
	ds_load_b128 v[12:15], v0
	s_wait_alu 0xfffe
	v_cndmask_b32_e64 v16, 0x80000000, 0, s8
	s_and_b32 s8, s7, vcc_lo
	s_wait_alu 0xfffe
	v_cndmask_b32_e64 v17, 0x80000008, 8, s8
	s_and_b32 s8, s7, s2
	v_add_nc_u32_e32 v16, v21, v16
	s_delay_alu instid0(VALU_DEP_2)
	v_add_nc_u32_e32 v17, v21, v17
	s_wait_dscnt 0x0
	s_clause 0x1
	buffer_store_b64 v[12:13], v16, s[20:23], null offen
	buffer_store_b64 v[14:15], v17, s[20:23], null offen
	s_wait_dscnt 0x0
	s_barrier_signal -1
	s_barrier_wait -1
	s_clause 0x1
	scratch_load_b128 v[12:15], off, off offset:2752
	scratch_load_b128 v[16:19], off, off offset:2768
	s_wait_loadcnt 0x1
	v_cvt_f16_f32_e32 v12, v12
	v_cvt_f16_f32_e32 v13, v13
	;; [unrolled: 1-line block ×4, first 2 shown]
	s_wait_loadcnt 0x0
	v_cvt_f16_f32_e32 v16, v16
	v_cvt_f16_f32_e32 v17, v17
	;; [unrolled: 1-line block ×4, first 2 shown]
	ds_store_b16 v1, v12
	ds_store_b16 v1, v13 offset:128
	ds_store_b16 v1, v14 offset:256
	ds_store_b16 v1, v15 offset:384
	ds_store_b16 v1, v16 offset:512
	ds_store_b16 v1, v17 offset:640
	ds_store_b16 v1, v18 offset:768
	ds_store_b16 v1, v19 offset:896
	s_wait_dscnt 0x0
	s_barrier_signal -1
	s_barrier_wait -1
	ds_load_b128 v[12:15], v0
	v_cndmask_b32_e64 v16, 0x80000080, v7, s8
	s_and_b32 s8, s7, s1
	s_wait_alu 0xfffe
	v_cndmask_b32_e64 v17, 0x80000088, v8, s8
	s_and_b32 s8, s7, s4
	v_add_nc_u32_e32 v16, v21, v16
	s_delay_alu instid0(VALU_DEP_2)
	v_add_nc_u32_e32 v17, v21, v17
	s_wait_dscnt 0x0
	s_clause 0x1
	buffer_store_b64 v[12:13], v16, s[20:23], null offen
	buffer_store_b64 v[14:15], v17, s[20:23], null offen
	s_wait_dscnt 0x0
	s_barrier_signal -1
	s_barrier_wait -1
	s_clause 0x1
	scratch_load_b128 v[12:15], off, off offset:2784
	scratch_load_b128 v[16:19], off, off offset:2800
	s_wait_loadcnt 0x1
	v_cvt_f16_f32_e32 v12, v12
	v_cvt_f16_f32_e32 v13, v13
	;; [unrolled: 1-line block ×4, first 2 shown]
	s_wait_loadcnt 0x0
	v_cvt_f16_f32_e32 v16, v16
	v_cvt_f16_f32_e32 v17, v17
	;; [unrolled: 1-line block ×4, first 2 shown]
	ds_store_b16 v1, v12
	ds_store_b16 v1, v13 offset:128
	ds_store_b16 v1, v14 offset:256
	;; [unrolled: 1-line block ×7, first 2 shown]
	s_wait_dscnt 0x0
	s_barrier_signal -1
	s_barrier_wait -1
	ds_load_b128 v[12:15], v0
	v_cndmask_b32_e64 v16, 0x80000100, v9, s8
	s_and_b32 s8, s7, s3
	s_wait_alu 0xfffe
	v_cndmask_b32_e64 v17, 0x80000108, v10, s8
	s_and_b32 s8, s7, s6
	v_add_nc_u32_e32 v16, v21, v16
	s_and_b32 s7, s7, s5
	s_delay_alu instid0(VALU_DEP_2)
	v_add_nc_u32_e32 v17, v21, v17
	s_wait_dscnt 0x0
	s_clause 0x1
	buffer_store_b64 v[12:13], v16, s[20:23], null offen
	buffer_store_b64 v[14:15], v17, s[20:23], null offen
	s_wait_dscnt 0x0
	s_barrier_signal -1
	s_barrier_wait -1
	s_clause 0x1
	scratch_load_b128 v[12:15], off, off offset:2816
	scratch_load_b128 v[16:19], off, off offset:2832
	s_wait_loadcnt 0x1
	v_cvt_f16_f32_e32 v12, v12
	v_cvt_f16_f32_e32 v13, v13
	;; [unrolled: 1-line block ×4, first 2 shown]
	s_wait_loadcnt 0x0
	v_cvt_f16_f32_e32 v16, v16
	v_cvt_f16_f32_e32 v17, v17
	;; [unrolled: 1-line block ×4, first 2 shown]
	ds_store_b16 v1, v12
	ds_store_b16 v1, v13 offset:128
	ds_store_b16 v1, v14 offset:256
	;; [unrolled: 1-line block ×7, first 2 shown]
	s_wait_dscnt 0x0
	s_barrier_signal -1
	s_barrier_wait -1
	ds_load_b128 v[12:15], v0
	v_cndmask_b32_e64 v16, 0x80000000, 0, s8
	v_cndmask_b32_e64 v17, 0x80000188, v11, s7
	s_delay_alu instid0(VALU_DEP_2) | instskip(NEXT) | instid1(VALU_DEP_2)
	v_lshl_add_u32 v16, v22, 1, v16
	v_add_nc_u32_e32 v17, v21, v17
	s_wait_dscnt 0x0
	s_clause 0x1
	buffer_store_b64 v[12:13], v16, s[20:23], null offen
	buffer_store_b64 v[14:15], v17, s[20:23], null offen
	s_wait_dscnt 0x0
	s_barrier_signal -1
	s_barrier_wait -1
	s_clause 0x1
	scratch_load_b128 v[12:15], off, off offset:2944
	scratch_load_b128 v[16:19], off, off offset:2960
	v_or_b32_e32 v21, 0xa0, v2
	s_delay_alu instid0(VALU_DEP_1)
	v_cmp_gt_i32_e64 s7, s16, v21
	v_add_lshl_u32 v21, v22, s9, 1
	s_and_b32 s8, s7, s6
	s_wait_loadcnt 0x1
	v_cvt_f16_f32_e32 v12, v12
	v_cvt_f16_f32_e32 v13, v13
	;; [unrolled: 1-line block ×4, first 2 shown]
	s_wait_loadcnt 0x0
	v_cvt_f16_f32_e32 v16, v16
	v_cvt_f16_f32_e32 v17, v17
	;; [unrolled: 1-line block ×4, first 2 shown]
	ds_store_b16 v1, v12
	ds_store_b16 v1, v13 offset:128
	ds_store_b16 v1, v14 offset:256
	;; [unrolled: 1-line block ×7, first 2 shown]
	s_wait_dscnt 0x0
	s_barrier_signal -1
	s_barrier_wait -1
	ds_load_b128 v[12:15], v0
	s_wait_alu 0xfffe
	v_cndmask_b32_e64 v16, 0x80000000, 0, s8
	s_and_b32 s8, s7, s5
	s_wait_alu 0xfffe
	v_cndmask_b32_e64 v17, 0x80000008, 8, s8
	s_and_b32 s8, s7, s4
	v_add_nc_u32_e32 v16, v21, v16
	s_delay_alu instid0(VALU_DEP_2)
	v_add_nc_u32_e32 v17, v21, v17
	s_wait_dscnt 0x0
	s_clause 0x1
	buffer_store_b64 v[12:13], v16, s[20:23], null offen
	buffer_store_b64 v[14:15], v17, s[20:23], null offen
	s_wait_dscnt 0x0
	s_barrier_signal -1
	s_barrier_wait -1
	s_clause 0x1
	scratch_load_b128 v[12:15], off, off offset:2912
	scratch_load_b128 v[16:19], off, off offset:2928
	s_wait_loadcnt 0x1
	v_cvt_f16_f32_e32 v12, v12
	v_cvt_f16_f32_e32 v13, v13
	;; [unrolled: 1-line block ×4, first 2 shown]
	s_wait_loadcnt 0x0
	v_cvt_f16_f32_e32 v16, v16
	v_cvt_f16_f32_e32 v17, v17
	;; [unrolled: 1-line block ×4, first 2 shown]
	ds_store_b16 v1, v12
	ds_store_b16 v1, v13 offset:128
	ds_store_b16 v1, v14 offset:256
	;; [unrolled: 1-line block ×7, first 2 shown]
	s_wait_dscnt 0x0
	s_barrier_signal -1
	s_barrier_wait -1
	ds_load_b128 v[12:15], v0
	v_cndmask_b32_e64 v16, 0x7fffff80, v3, s8
	s_and_b32 s8, s7, s3
	s_wait_alu 0xfffe
	v_cndmask_b32_e64 v17, 0x7fffff88, v4, s8
	s_and_b32 s8, s7, s2
	v_add_nc_u32_e32 v16, v21, v16
	s_delay_alu instid0(VALU_DEP_2)
	v_add_nc_u32_e32 v17, v21, v17
	s_wait_dscnt 0x0
	s_clause 0x1
	buffer_store_b64 v[12:13], v16, s[20:23], null offen
	buffer_store_b64 v[14:15], v17, s[20:23], null offen
	s_wait_dscnt 0x0
	s_barrier_signal -1
	s_barrier_wait -1
	s_clause 0x1
	scratch_load_b128 v[12:15], off, off offset:2880
	scratch_load_b128 v[16:19], off, off offset:2896
	s_wait_loadcnt 0x1
	v_cvt_f16_f32_e32 v12, v12
	v_cvt_f16_f32_e32 v13, v13
	;; [unrolled: 1-line block ×4, first 2 shown]
	s_wait_loadcnt 0x0
	v_cvt_f16_f32_e32 v16, v16
	v_cvt_f16_f32_e32 v17, v17
	;; [unrolled: 1-line block ×4, first 2 shown]
	ds_store_b16 v1, v12
	ds_store_b16 v1, v13 offset:128
	ds_store_b16 v1, v14 offset:256
	;; [unrolled: 1-line block ×7, first 2 shown]
	s_wait_dscnt 0x0
	s_barrier_signal -1
	s_barrier_wait -1
	ds_load_b128 v[12:15], v0
	v_cndmask_b32_e64 v16, 0x7fffff00, v5, s8
	s_and_b32 s8, s7, s1
	s_wait_alu 0xfffe
	v_cndmask_b32_e64 v17, 0x7fffff08, v6, s8
	s_and_b32 s8, s0, s7
	v_add_nc_u32_e32 v16, v21, v16
	s_and_b32 s7, s7, vcc_lo
	s_delay_alu instid0(VALU_DEP_2)
	v_add_nc_u32_e32 v17, v21, v17
	s_wait_dscnt 0x0
	s_clause 0x1
	buffer_store_b64 v[12:13], v16, s[20:23], null offen
	buffer_store_b64 v[14:15], v17, s[20:23], null offen
	s_wait_dscnt 0x0
	s_barrier_signal -1
	s_barrier_wait -1
	s_clause 0x1
	scratch_load_b128 v[12:15], off, off offset:2848
	scratch_load_b128 v[16:19], off, off offset:2864
	v_or_b32_e32 v21, 0xc0, v2
	v_or_b32_e32 v2, 0xe0, v2
	s_wait_loadcnt 0x1
	v_cvt_f16_f32_e32 v12, v12
	v_cvt_f16_f32_e32 v13, v13
	;; [unrolled: 1-line block ×4, first 2 shown]
	s_wait_loadcnt 0x0
	v_cvt_f16_f32_e32 v16, v16
	v_cvt_f16_f32_e32 v17, v17
	;; [unrolled: 1-line block ×4, first 2 shown]
	ds_store_b16 v1, v12
	ds_store_b16 v1, v13 offset:128
	ds_store_b16 v1, v14 offset:256
	;; [unrolled: 1-line block ×7, first 2 shown]
	s_wait_dscnt 0x0
	s_barrier_signal -1
	s_barrier_wait -1
	ds_load_b128 v[12:15], v0
	v_cndmask_b32_e64 v16, 0x80000000, 0, s8
	v_lshlrev_b32_e32 v17, 1, v20
	v_cndmask_b32_e64 v18, 0x80000008, 8, s7
	v_cmp_gt_i32_e64 s7, s16, v21
	v_add_nc_u32_e32 v20, s9, v20
	s_delay_alu instid0(VALU_DEP_4) | instskip(NEXT) | instid1(VALU_DEP_4)
	v_add_nc_u32_e32 v16, v17, v16
	v_add_nc_u32_e32 v17, v17, v18
	s_wait_dscnt 0x0
	s_clause 0x1
	buffer_store_b64 v[12:13], v16, s[20:23], null offen
	buffer_store_b64 v[14:15], v17, s[20:23], null offen
	s_wait_dscnt 0x0
	s_barrier_signal -1
	s_barrier_wait -1
	s_clause 0x1
	scratch_load_b128 v[12:15], off, off offset:2976
	scratch_load_b128 v[16:19], off, off offset:2992
	s_and_b32 s8, s0, s7
	v_lshlrev_b32_e32 v21, 1, v20
	s_wait_loadcnt 0x1
	v_cvt_f16_f32_e32 v12, v12
	v_cvt_f16_f32_e32 v13, v13
	;; [unrolled: 1-line block ×4, first 2 shown]
	s_wait_loadcnt 0x0
	v_cvt_f16_f32_e32 v16, v16
	v_cvt_f16_f32_e32 v17, v17
	;; [unrolled: 1-line block ×4, first 2 shown]
	ds_store_b16 v1, v12
	ds_store_b16 v1, v13 offset:128
	ds_store_b16 v1, v14 offset:256
	;; [unrolled: 1-line block ×7, first 2 shown]
	s_wait_dscnt 0x0
	s_barrier_signal -1
	s_barrier_wait -1
	ds_load_b128 v[12:15], v0
	s_wait_alu 0xfffe
	v_cndmask_b32_e64 v16, 0x80000000, 0, s8
	s_and_b32 s8, s7, vcc_lo
	s_wait_alu 0xfffe
	v_cndmask_b32_e64 v17, 0x80000008, 8, s8
	s_and_b32 s8, s7, s2
	v_add_nc_u32_e32 v16, v21, v16
	s_wait_alu 0xfffe
	v_cndmask_b32_e64 v7, 0x80000080, v7, s8
	s_and_b32 s8, s7, s1
	v_add_nc_u32_e32 v17, v21, v17
	s_wait_dscnt 0x0
	s_clause 0x1
	buffer_store_b64 v[12:13], v16, s[20:23], null offen
	buffer_store_b64 v[14:15], v17, s[20:23], null offen
	s_wait_dscnt 0x0
	s_barrier_signal -1
	s_barrier_wait -1
	s_clause 0x1
	scratch_load_b128 v[12:15], off, off offset:3008
	scratch_load_b128 v[16:19], off, off offset:3024
	v_cndmask_b32_e64 v8, 0x80000088, v8, s8
	v_add_nc_u32_e32 v7, v21, v7
	s_and_b32 s8, s7, s4
	s_delay_alu instid0(VALU_DEP_2)
	v_add_nc_u32_e32 v8, v21, v8
	s_wait_loadcnt 0x1
	v_cvt_f16_f32_e32 v12, v12
	v_cvt_f16_f32_e32 v13, v13
	;; [unrolled: 1-line block ×4, first 2 shown]
	s_wait_loadcnt 0x0
	v_cvt_f16_f32_e32 v16, v16
	v_cvt_f16_f32_e32 v17, v17
	v_cvt_f16_f32_e32 v18, v18
	v_cvt_f16_f32_e32 v19, v19
	ds_store_b16 v1, v12
	ds_store_b16 v1, v13 offset:128
	ds_store_b16 v1, v14 offset:256
	;; [unrolled: 1-line block ×7, first 2 shown]
	s_wait_dscnt 0x0
	s_barrier_signal -1
	s_barrier_wait -1
	ds_load_b128 v[12:15], v0
	s_wait_dscnt 0x0
	s_clause 0x1
	buffer_store_b64 v[12:13], v7, s[20:23], null offen
	buffer_store_b64 v[14:15], v8, s[20:23], null offen
	s_wait_dscnt 0x0
	s_barrier_signal -1
	s_barrier_wait -1
	s_clause 0x1
	scratch_load_b128 v[12:15], off, off offset:3040
	scratch_load_b128 v[16:19], off, off offset:3056
	s_wait_loadcnt 0x1
	v_cvt_f16_f32_e32 v7, v12
	v_cvt_f16_f32_e32 v8, v13
	;; [unrolled: 1-line block ×4, first 2 shown]
	s_wait_loadcnt 0x0
	v_cvt_f16_f32_e32 v14, v16
	v_cvt_f16_f32_e32 v15, v17
	;; [unrolled: 1-line block ×4, first 2 shown]
	ds_store_b16 v1, v7
	ds_store_b16 v1, v8 offset:128
	ds_store_b16 v1, v12 offset:256
	;; [unrolled: 1-line block ×7, first 2 shown]
	s_wait_dscnt 0x0
	s_barrier_signal -1
	s_barrier_wait -1
	ds_load_b128 v[12:15], v0
	v_cndmask_b32_e64 v7, 0x80000100, v9, s8
	s_and_b32 s8, s7, s3
	s_wait_alu 0xfffe
	v_cndmask_b32_e64 v8, 0x80000108, v10, s8
	s_and_b32 s8, s7, s6
	v_add_nc_u32_e32 v7, v21, v7
	s_and_b32 s7, s7, s5
	s_delay_alu instid0(VALU_DEP_2)
	v_add_nc_u32_e32 v8, v21, v8
	s_wait_dscnt 0x0
	s_clause 0x1
	buffer_store_b64 v[12:13], v7, s[20:23], null offen
	buffer_store_b64 v[14:15], v8, s[20:23], null offen
	s_wait_dscnt 0x0
	s_barrier_signal -1
	s_barrier_wait -1
	s_clause 0x1
	scratch_load_b128 v[7:10], off, off offset:3072
	scratch_load_b128 v[12:15], off, off offset:3088
	v_cndmask_b32_e64 v11, 0x80000188, v11, s7
	v_cmp_gt_i32_e64 s7, s16, v2
	s_delay_alu instid0(VALU_DEP_2)
	v_add_nc_u32_e32 v11, v21, v11
	s_and_b32 s6, s7, s6
	s_and_b32 s5, s7, s5
	s_wait_alu 0xfffe
	v_cndmask_b32_e64 v2, 0x80000000, 0, s6
	s_and_b32 s4, s7, s4
	s_and_b32 s3, s7, s3
	;; [unrolled: 1-line block ×5, first 2 shown]
	s_wait_loadcnt 0x1
	v_cvt_f16_f32_e32 v7, v7
	v_cvt_f16_f32_e32 v8, v8
	;; [unrolled: 1-line block ×4, first 2 shown]
	s_wait_loadcnt 0x0
	v_cvt_f16_f32_e32 v12, v12
	v_cvt_f16_f32_e32 v13, v13
	;; [unrolled: 1-line block ×4, first 2 shown]
	ds_store_b16 v1, v7
	ds_store_b16 v1, v8 offset:128
	ds_store_b16 v1, v9 offset:256
	;; [unrolled: 1-line block ×7, first 2 shown]
	s_wait_dscnt 0x0
	s_barrier_signal -1
	s_barrier_wait -1
	ds_load_b128 v[7:10], v0
	v_cndmask_b32_e64 v12, 0x80000000, 0, s8
	v_add_nc_u32_e32 v15, 0xc0, v20
	s_delay_alu instid0(VALU_DEP_1)
	v_lshl_add_u32 v12, v15, 1, v12
	s_wait_dscnt 0x0
	s_clause 0x1
	buffer_store_b64 v[7:8], v12, s[20:23], null offen
	buffer_store_b64 v[9:10], v11, s[20:23], null offen
	s_wait_dscnt 0x0
	s_barrier_signal -1
	s_barrier_wait -1
	s_clause 0x1
	scratch_load_b128 v[7:10], off, off offset:3200
	scratch_load_b128 v[11:14], off, off offset:3216
	v_add_lshl_u32 v15, v15, s9, 1
	s_delay_alu instid0(VALU_DEP_1)
	v_add_nc_u32_e32 v2, v15, v2
	s_wait_loadcnt 0x1
	v_cvt_f16_f32_e32 v7, v7
	v_cvt_f16_f32_e32 v8, v8
	;; [unrolled: 1-line block ×4, first 2 shown]
	s_wait_loadcnt 0x0
	v_cvt_f16_f32_e32 v11, v11
	v_cvt_f16_f32_e32 v12, v12
	;; [unrolled: 1-line block ×4, first 2 shown]
	ds_store_b16 v1, v7
	ds_store_b16 v1, v8 offset:128
	ds_store_b16 v1, v9 offset:256
	;; [unrolled: 1-line block ×7, first 2 shown]
	s_wait_dscnt 0x0
	s_barrier_signal -1
	s_barrier_wait -1
	ds_load_b128 v[7:10], v0
	v_cndmask_b32_e64 v11, 0x80000008, 8, s5
	s_delay_alu instid0(VALU_DEP_1)
	v_add_nc_u32_e32 v11, v15, v11
	s_wait_dscnt 0x0
	s_clause 0x1
	buffer_store_b64 v[7:8], v2, s[20:23], null offen
	buffer_store_b64 v[9:10], v11, s[20:23], null offen
	s_wait_dscnt 0x0
	s_barrier_signal -1
	s_barrier_wait -1
	s_clause 0x1
	scratch_load_b128 v[7:10], off, off offset:3168
	scratch_load_b128 v[11:14], off, off offset:3184
	s_wait_loadcnt 0x1
	v_cvt_f16_f32_e32 v2, v7
	v_cvt_f16_f32_e32 v7, v8
	;; [unrolled: 1-line block ×4, first 2 shown]
	s_wait_loadcnt 0x0
	v_cvt_f16_f32_e32 v10, v11
	v_cvt_f16_f32_e32 v11, v12
	;; [unrolled: 1-line block ×4, first 2 shown]
	ds_store_b16 v1, v2
	ds_store_b16 v1, v7 offset:128
	ds_store_b16 v1, v8 offset:256
	;; [unrolled: 1-line block ×7, first 2 shown]
	s_wait_dscnt 0x0
	s_barrier_signal -1
	s_barrier_wait -1
	ds_load_b128 v[7:10], v0
	v_cndmask_b32_e64 v2, 0x7fffff80, v3, s4
	v_cndmask_b32_e64 v3, 0x7fffff88, v4, s3
	s_delay_alu instid0(VALU_DEP_2) | instskip(NEXT) | instid1(VALU_DEP_2)
	v_add_nc_u32_e32 v2, v15, v2
	v_add_nc_u32_e32 v3, v15, v3
	s_wait_dscnt 0x0
	s_clause 0x1
	buffer_store_b64 v[7:8], v2, s[20:23], null offen
	buffer_store_b64 v[9:10], v3, s[20:23], null offen
	s_wait_dscnt 0x0
	s_barrier_signal -1
	s_barrier_wait -1
	s_clause 0x1
	scratch_load_b128 v[7:10], off, off offset:3136
	scratch_load_b128 v[11:14], off, off offset:3152
	s_wait_loadcnt 0x1
	v_cvt_f16_f32_e32 v2, v7
	v_cvt_f16_f32_e32 v3, v8
	;; [unrolled: 1-line block ×4, first 2 shown]
	s_wait_loadcnt 0x0
	v_cvt_f16_f32_e32 v8, v11
	v_cvt_f16_f32_e32 v9, v12
	;; [unrolled: 1-line block ×4, first 2 shown]
	ds_store_b16 v1, v2
	ds_store_b16 v1, v3 offset:128
	ds_store_b16 v1, v4 offset:256
	;; [unrolled: 1-line block ×7, first 2 shown]
	s_wait_dscnt 0x0
	s_barrier_signal -1
	s_barrier_wait -1
	ds_load_b128 v[7:10], v0
	v_cndmask_b32_e64 v2, 0x7fffff00, v5, s2
	v_cndmask_b32_e64 v3, 0x7fffff08, v6, s1
	s_delay_alu instid0(VALU_DEP_2) | instskip(NEXT) | instid1(VALU_DEP_2)
	v_add_nc_u32_e32 v2, v15, v2
	v_add_nc_u32_e32 v3, v15, v3
	s_wait_dscnt 0x0
	s_clause 0x1
	buffer_store_b64 v[7:8], v2, s[20:23], null offen
	buffer_store_b64 v[9:10], v3, s[20:23], null offen
	s_wait_dscnt 0x0
	s_barrier_signal -1
	s_barrier_wait -1
	s_clause 0x1
	scratch_load_b128 v[2:5], off, off offset:3104
	scratch_load_b128 v[6:9], off, off offset:3120
	s_wait_loadcnt 0x1
	v_cvt_f16_f32_e32 v2, v2
	v_cvt_f16_f32_e32 v3, v3
	;; [unrolled: 1-line block ×4, first 2 shown]
	s_wait_loadcnt 0x0
	v_cvt_f16_f32_e32 v6, v6
	v_cvt_f16_f32_e32 v7, v7
	;; [unrolled: 1-line block ×4, first 2 shown]
	ds_store_b16 v1, v2
	ds_store_b16 v1, v3 offset:128
	ds_store_b16 v1, v4 offset:256
	;; [unrolled: 1-line block ×7, first 2 shown]
	s_wait_dscnt 0x0
	s_barrier_signal -1
	s_barrier_wait -1
	ds_load_b128 v[0:3], v0
	v_cndmask_b32_e64 v4, 0x80000000, 0, s0
	s_and_b32 s0, s7, vcc_lo
	v_add_lshl_u32 v5, v20, s9, 1
	s_wait_alu 0xfffe
	v_cndmask_b32_e64 v6, 0x80000008, 8, s0
	s_delay_alu instid0(VALU_DEP_2) | instskip(NEXT) | instid1(VALU_DEP_2)
	v_add_nc_u32_e32 v4, v5, v4
	v_add_nc_u32_e32 v5, v5, v6
	s_wait_dscnt 0x0
	s_clause 0x1
	buffer_store_b64 v[0:1], v4, s[20:23], null offen
	buffer_store_b64 v[2:3], v5, s[20:23], null offen
	s_endpgm
	.section	.rodata,"a",@progbits
	.p2align	6, 0x0
	.amdhsa_kernel _ZN2ck45kernel_gemm_xdl_cshuffle_v3_b_preshuffle_2ldsINS_41GridwiseGemm_xdl_cshuffle_v3_b_preshuffleINS_13tensor_layout4gemm8RowMajorENS3_11ColumnMajorES4_NS_9f8_fnuz_tENS_7pk_i4_tEfDF16_DF16_NS_16tensor_operation12element_wise11PassThroughESA_SA_LNS8_6device18GemmSpecializationE0ELi256ELi256ELi256ELi128ELi16ELi32ELi16ELi16ELi8ELi4ENS_8SequenceIJLi8ELi32ELi1EEEENSD_IJLi1ELi0ELi2EEEESF_Li2ELi16ELi16ELb0ELi0ENSD_IJLi4ELi64ELi1EEEESF_SF_Li2ELi32ELi32ELb0ELi0ELi1ELi1ENSD_IJLi1ELi32ELi1ELi8EEEELi4ELNS_26BlockGemmPipelineSchedulerE0ELNS_24BlockGemmPipelineVersionE2ES6_S6_Lb0ELb0ELi0EEELb1ELNS_25InMemoryDataOperationEnumE0ELi1ELNS_10TailNumberE0EEEvNT_8ArgumentE
		.amdhsa_group_segment_fixed_size 65536
		.amdhsa_private_segment_fixed_size 4400
		.amdhsa_kernarg_size 112
		.amdhsa_user_sgpr_count 2
		.amdhsa_user_sgpr_dispatch_ptr 0
		.amdhsa_user_sgpr_queue_ptr 0
		.amdhsa_user_sgpr_kernarg_segment_ptr 1
		.amdhsa_user_sgpr_dispatch_id 0
		.amdhsa_user_sgpr_private_segment_size 0
		.amdhsa_wavefront_size32 1
		.amdhsa_uses_dynamic_stack 0
		.amdhsa_enable_private_segment 1
		.amdhsa_system_sgpr_workgroup_id_x 1
		.amdhsa_system_sgpr_workgroup_id_y 0
		.amdhsa_system_sgpr_workgroup_id_z 1
		.amdhsa_system_sgpr_workgroup_info 0
		.amdhsa_system_vgpr_workitem_id 0
		.amdhsa_next_free_vgpr 241
		.amdhsa_next_free_sgpr 34
		.amdhsa_reserve_vcc 1
		.amdhsa_float_round_mode_32 0
		.amdhsa_float_round_mode_16_64 0
		.amdhsa_float_denorm_mode_32 3
		.amdhsa_float_denorm_mode_16_64 3
		.amdhsa_fp16_overflow 0
		.amdhsa_workgroup_processor_mode 1
		.amdhsa_memory_ordered 1
		.amdhsa_forward_progress 1
		.amdhsa_inst_pref_size 97
		.amdhsa_round_robin_scheduling 0
		.amdhsa_exception_fp_ieee_invalid_op 0
		.amdhsa_exception_fp_denorm_src 0
		.amdhsa_exception_fp_ieee_div_zero 0
		.amdhsa_exception_fp_ieee_overflow 0
		.amdhsa_exception_fp_ieee_underflow 0
		.amdhsa_exception_fp_ieee_inexact 0
		.amdhsa_exception_int_div_zero 0
	.end_amdhsa_kernel
	.section	.text._ZN2ck45kernel_gemm_xdl_cshuffle_v3_b_preshuffle_2ldsINS_41GridwiseGemm_xdl_cshuffle_v3_b_preshuffleINS_13tensor_layout4gemm8RowMajorENS3_11ColumnMajorES4_NS_9f8_fnuz_tENS_7pk_i4_tEfDF16_DF16_NS_16tensor_operation12element_wise11PassThroughESA_SA_LNS8_6device18GemmSpecializationE0ELi256ELi256ELi256ELi128ELi16ELi32ELi16ELi16ELi8ELi4ENS_8SequenceIJLi8ELi32ELi1EEEENSD_IJLi1ELi0ELi2EEEESF_Li2ELi16ELi16ELb0ELi0ENSD_IJLi4ELi64ELi1EEEESF_SF_Li2ELi32ELi32ELb0ELi0ELi1ELi1ENSD_IJLi1ELi32ELi1ELi8EEEELi4ELNS_26BlockGemmPipelineSchedulerE0ELNS_24BlockGemmPipelineVersionE2ES6_S6_Lb0ELb0ELi0EEELb1ELNS_25InMemoryDataOperationEnumE0ELi1ELNS_10TailNumberE0EEEvNT_8ArgumentE,"axG",@progbits,_ZN2ck45kernel_gemm_xdl_cshuffle_v3_b_preshuffle_2ldsINS_41GridwiseGemm_xdl_cshuffle_v3_b_preshuffleINS_13tensor_layout4gemm8RowMajorENS3_11ColumnMajorES4_NS_9f8_fnuz_tENS_7pk_i4_tEfDF16_DF16_NS_16tensor_operation12element_wise11PassThroughESA_SA_LNS8_6device18GemmSpecializationE0ELi256ELi256ELi256ELi128ELi16ELi32ELi16ELi16ELi8ELi4ENS_8SequenceIJLi8ELi32ELi1EEEENSD_IJLi1ELi0ELi2EEEESF_Li2ELi16ELi16ELb0ELi0ENSD_IJLi4ELi64ELi1EEEESF_SF_Li2ELi32ELi32ELb0ELi0ELi1ELi1ENSD_IJLi1ELi32ELi1ELi8EEEELi4ELNS_26BlockGemmPipelineSchedulerE0ELNS_24BlockGemmPipelineVersionE2ES6_S6_Lb0ELb0ELi0EEELb1ELNS_25InMemoryDataOperationEnumE0ELi1ELNS_10TailNumberE0EEEvNT_8ArgumentE,comdat
.Lfunc_end10:
	.size	_ZN2ck45kernel_gemm_xdl_cshuffle_v3_b_preshuffle_2ldsINS_41GridwiseGemm_xdl_cshuffle_v3_b_preshuffleINS_13tensor_layout4gemm8RowMajorENS3_11ColumnMajorES4_NS_9f8_fnuz_tENS_7pk_i4_tEfDF16_DF16_NS_16tensor_operation12element_wise11PassThroughESA_SA_LNS8_6device18GemmSpecializationE0ELi256ELi256ELi256ELi128ELi16ELi32ELi16ELi16ELi8ELi4ENS_8SequenceIJLi8ELi32ELi1EEEENSD_IJLi1ELi0ELi2EEEESF_Li2ELi16ELi16ELb0ELi0ENSD_IJLi4ELi64ELi1EEEESF_SF_Li2ELi32ELi32ELb0ELi0ELi1ELi1ENSD_IJLi1ELi32ELi1ELi8EEEELi4ELNS_26BlockGemmPipelineSchedulerE0ELNS_24BlockGemmPipelineVersionE2ES6_S6_Lb0ELb0ELi0EEELb1ELNS_25InMemoryDataOperationEnumE0ELi1ELNS_10TailNumberE0EEEvNT_8ArgumentE, .Lfunc_end10-_ZN2ck45kernel_gemm_xdl_cshuffle_v3_b_preshuffle_2ldsINS_41GridwiseGemm_xdl_cshuffle_v3_b_preshuffleINS_13tensor_layout4gemm8RowMajorENS3_11ColumnMajorES4_NS_9f8_fnuz_tENS_7pk_i4_tEfDF16_DF16_NS_16tensor_operation12element_wise11PassThroughESA_SA_LNS8_6device18GemmSpecializationE0ELi256ELi256ELi256ELi128ELi16ELi32ELi16ELi16ELi8ELi4ENS_8SequenceIJLi8ELi32ELi1EEEENSD_IJLi1ELi0ELi2EEEESF_Li2ELi16ELi16ELb0ELi0ENSD_IJLi4ELi64ELi1EEEESF_SF_Li2ELi32ELi32ELb0ELi0ELi1ELi1ENSD_IJLi1ELi32ELi1ELi8EEEELi4ELNS_26BlockGemmPipelineSchedulerE0ELNS_24BlockGemmPipelineVersionE2ES6_S6_Lb0ELb0ELi0EEELb1ELNS_25InMemoryDataOperationEnumE0ELi1ELNS_10TailNumberE0EEEvNT_8ArgumentE
                                        ; -- End function
	.set _ZN2ck45kernel_gemm_xdl_cshuffle_v3_b_preshuffle_2ldsINS_41GridwiseGemm_xdl_cshuffle_v3_b_preshuffleINS_13tensor_layout4gemm8RowMajorENS3_11ColumnMajorES4_NS_9f8_fnuz_tENS_7pk_i4_tEfDF16_DF16_NS_16tensor_operation12element_wise11PassThroughESA_SA_LNS8_6device18GemmSpecializationE0ELi256ELi256ELi256ELi128ELi16ELi32ELi16ELi16ELi8ELi4ENS_8SequenceIJLi8ELi32ELi1EEEENSD_IJLi1ELi0ELi2EEEESF_Li2ELi16ELi16ELb0ELi0ENSD_IJLi4ELi64ELi1EEEESF_SF_Li2ELi32ELi32ELb0ELi0ELi1ELi1ENSD_IJLi1ELi32ELi1ELi8EEEELi4ELNS_26BlockGemmPipelineSchedulerE0ELNS_24BlockGemmPipelineVersionE2ES6_S6_Lb0ELb0ELi0EEELb1ELNS_25InMemoryDataOperationEnumE0ELi1ELNS_10TailNumberE0EEEvNT_8ArgumentE.num_vgpr, max(46, .L_ZNK2ck52BlockwiseGemmXdlops_pipeline_bpreshuffle_bdequant_v3ILNS_26BlockGemmPipelineSchedulerE0ELi256ENS_9f8_fnuz_tENS_7pk_i4_tES2_fNS_16TensorDescriptorINS_5TupleIJNS_5EmbedINS5_IJNS_17integral_constantIiLi8EEENS7_IiLi256EEENS7_IiLi16EEEEEENS5_IJSA_NS7_IiLi128EEENS7_IiLi1EEEEEELb0EEENS_3XorINS5_IJS9_S8_EEELb1EEENS_11PassThroughISA_EENS_7UnMergeINS5_IJS8_SD_EEELb0EEENSJ_IS9_EESK_NSJ_IS8_EENS_21Merge_v3_division_modINS5_IJS9_SD_EEEEESK_EEENS5_IJNS_8SequenceIJLi0EEEENSU_IJLi2ELi1EEEENSU_IJLi3EEEENSU_IJLi5EEEENSU_IJLi4EEEENSU_IJLi6EEEENSU_IJLi7EEEENSU_IJLi9ELi8EEEENSU_IJLi10EEEEEEENS5_IJNSU_IJLi1ELi2ELi3EEEENSU_IJLi4ELi5EEEES10_NSU_IJLi7ELi8EEEENSU_IJLi9EEEES13_NSU_IJLi11EEEENSU_IJLi12EEEENSU_IJLi13EEEEEEENSU_IJLi11ELi12ELi13EEEENS7_IlLl32768EEEEENS4_INS5_IJNSL_INS5_IJNS7_IiLi4EEESD_NS7_IiLi2EEENS7_IiLi32EEEEEELb0EEEEEENS5_IJSV_EEENS5_IJNSU_IJLi1ELi2ELi3ELi4EEEEEEES1N_NS7_IlLl256EEEEENS4_INS5_IJSF_SI_SK_SN_SO_SK_SP_SS_SK_NSQ_INS5_IJS8_SA_EEEEENSL_INS5_IJS8_S1H_SA_EEELb0EEEEEENS5_IJSV_SW_SX_SY_SZ_S10_S11_S12_S13_NSU_IJLi11ELi13EEEES1A_EEENS5_IJS15_S16_S10_S17_S18_S13_S19_S1A_S1B_NSU_IJLi14EEEENSU_IJLi15ELi16ELi17EEEEEEENSU_IJLi15ELi16ELi17ELi14EEEES1E_EENS4_INS5_IJS1K_NSQ_INS5_IJS1G_S1H_EEEEENSL_INS5_IJS1G_S1G_SA_EEELb0EEEEEENS5_IJSV_NSU_IJLi1ELi3EEEENSU_IJLi2EEEEEEENS5_IJS1N_SY_NSU_IJLi6ELi7ELi8EEEEEEENSU_IJLi6ELi7ELi8ELi5EEEES1P_EELi16ELi32ELi256ELi256ELi128ELi16ELi16ELi8ELi4ELi32ELb0EE3RunILb1ELNS_10TailNumberE0ENS4_INS5_IJNS6_INS5_IJiiEEENS5_IJiSD_EEELb0EEENSL_IS2I_Lb0EEENSJ_IiEEEEENS5_IJSV_S29_NSU_IJLi1EEEEEEENS5_IJNSU_IJLi1ELi2EEEENSU_IJLi3ELi4EEEESY_EEENSU_IJLi3ELi5ELi4EEEElEES1F_NS_35ThreadGroupTensorSliceTransfer_v4r1INS_15ThisThreadBlockILi256EEENS_16tensor_operation12element_wise11PassThroughES30_LNS_25InMemoryDataOperationEnumE0ENSU_IJLi8ELi256ELi16EEEENSU_IJLi8ELi32ELi1EEEENSU_IJLi1ELi0ELi2EEEES2_S2_RKS2U_KS1F_S34_NSU_IJLi0ELi1ELi2EEEELi2ELi2ELi16ELi16ELi1ELi1ELb0ELb1ELi2EiEENS_13DynamicBufferILNS_16AddressSpaceEnumE1EKS2_lLb1ELNS_22AmdBufferCoherenceEnumE0EiEENS5_IJNS3A_ILS3B_2ES2_S1E_Lb1ELS3D_0EiEES3F_EEENS5_IJiiiEEENS4_INS5_IJNS6_INS5_IJiiiiEEENS5_IJiiiSD_EEELb0EEEEEES1M_S1O_S1N_lEENS_32ThreadwiseTensorSliceTransfer_v2IS3_S3_RKS3M_KS1Q_NSU_IJLi4ELi1ELi2ELi32EEEENSU_IJLi1ELi2ELi0ELi3EEEELi3ELi32ELi0ELb1ELb0ELb0EEENS3A_ILS3B_1EKS3_lLb1ELS3D_0EiEENS5_IJNS_12StaticBufferILS3B_4ES3_Li256ELb1EEES3X_EEES3I_NS_25StaticBufferTupleOfVectorILS3B_4EfLi32ELi8ELb1ELb0EEEEEvRKT1_RKT2_RT3_RKT4_RT5_RKT6_RKT7_RT8_RKT9_RT10_RKT11_RT12_i.num_vgpr)
	.set _ZN2ck45kernel_gemm_xdl_cshuffle_v3_b_preshuffle_2ldsINS_41GridwiseGemm_xdl_cshuffle_v3_b_preshuffleINS_13tensor_layout4gemm8RowMajorENS3_11ColumnMajorES4_NS_9f8_fnuz_tENS_7pk_i4_tEfDF16_DF16_NS_16tensor_operation12element_wise11PassThroughESA_SA_LNS8_6device18GemmSpecializationE0ELi256ELi256ELi256ELi128ELi16ELi32ELi16ELi16ELi8ELi4ENS_8SequenceIJLi8ELi32ELi1EEEENSD_IJLi1ELi0ELi2EEEESF_Li2ELi16ELi16ELb0ELi0ENSD_IJLi4ELi64ELi1EEEESF_SF_Li2ELi32ELi32ELb0ELi0ELi1ELi1ENSD_IJLi1ELi32ELi1ELi8EEEELi4ELNS_26BlockGemmPipelineSchedulerE0ELNS_24BlockGemmPipelineVersionE2ES6_S6_Lb0ELb0ELi0EEELb1ELNS_25InMemoryDataOperationEnumE0ELi1ELNS_10TailNumberE0EEEvNT_8ArgumentE.num_agpr, max(0, .L_ZNK2ck52BlockwiseGemmXdlops_pipeline_bpreshuffle_bdequant_v3ILNS_26BlockGemmPipelineSchedulerE0ELi256ENS_9f8_fnuz_tENS_7pk_i4_tES2_fNS_16TensorDescriptorINS_5TupleIJNS_5EmbedINS5_IJNS_17integral_constantIiLi8EEENS7_IiLi256EEENS7_IiLi16EEEEEENS5_IJSA_NS7_IiLi128EEENS7_IiLi1EEEEEELb0EEENS_3XorINS5_IJS9_S8_EEELb1EEENS_11PassThroughISA_EENS_7UnMergeINS5_IJS8_SD_EEELb0EEENSJ_IS9_EESK_NSJ_IS8_EENS_21Merge_v3_division_modINS5_IJS9_SD_EEEEESK_EEENS5_IJNS_8SequenceIJLi0EEEENSU_IJLi2ELi1EEEENSU_IJLi3EEEENSU_IJLi5EEEENSU_IJLi4EEEENSU_IJLi6EEEENSU_IJLi7EEEENSU_IJLi9ELi8EEEENSU_IJLi10EEEEEEENS5_IJNSU_IJLi1ELi2ELi3EEEENSU_IJLi4ELi5EEEES10_NSU_IJLi7ELi8EEEENSU_IJLi9EEEES13_NSU_IJLi11EEEENSU_IJLi12EEEENSU_IJLi13EEEEEEENSU_IJLi11ELi12ELi13EEEENS7_IlLl32768EEEEENS4_INS5_IJNSL_INS5_IJNS7_IiLi4EEESD_NS7_IiLi2EEENS7_IiLi32EEEEEELb0EEEEEENS5_IJSV_EEENS5_IJNSU_IJLi1ELi2ELi3ELi4EEEEEEES1N_NS7_IlLl256EEEEENS4_INS5_IJSF_SI_SK_SN_SO_SK_SP_SS_SK_NSQ_INS5_IJS8_SA_EEEEENSL_INS5_IJS8_S1H_SA_EEELb0EEEEEENS5_IJSV_SW_SX_SY_SZ_S10_S11_S12_S13_NSU_IJLi11ELi13EEEES1A_EEENS5_IJS15_S16_S10_S17_S18_S13_S19_S1A_S1B_NSU_IJLi14EEEENSU_IJLi15ELi16ELi17EEEEEEENSU_IJLi15ELi16ELi17ELi14EEEES1E_EENS4_INS5_IJS1K_NSQ_INS5_IJS1G_S1H_EEEEENSL_INS5_IJS1G_S1G_SA_EEELb0EEEEEENS5_IJSV_NSU_IJLi1ELi3EEEENSU_IJLi2EEEEEEENS5_IJS1N_SY_NSU_IJLi6ELi7ELi8EEEEEEENSU_IJLi6ELi7ELi8ELi5EEEES1P_EELi16ELi32ELi256ELi256ELi128ELi16ELi16ELi8ELi4ELi32ELb0EE3RunILb1ELNS_10TailNumberE0ENS4_INS5_IJNS6_INS5_IJiiEEENS5_IJiSD_EEELb0EEENSL_IS2I_Lb0EEENSJ_IiEEEEENS5_IJSV_S29_NSU_IJLi1EEEEEEENS5_IJNSU_IJLi1ELi2EEEENSU_IJLi3ELi4EEEESY_EEENSU_IJLi3ELi5ELi4EEEElEES1F_NS_35ThreadGroupTensorSliceTransfer_v4r1INS_15ThisThreadBlockILi256EEENS_16tensor_operation12element_wise11PassThroughES30_LNS_25InMemoryDataOperationEnumE0ENSU_IJLi8ELi256ELi16EEEENSU_IJLi8ELi32ELi1EEEENSU_IJLi1ELi0ELi2EEEES2_S2_RKS2U_KS1F_S34_NSU_IJLi0ELi1ELi2EEEELi2ELi2ELi16ELi16ELi1ELi1ELb0ELb1ELi2EiEENS_13DynamicBufferILNS_16AddressSpaceEnumE1EKS2_lLb1ELNS_22AmdBufferCoherenceEnumE0EiEENS5_IJNS3A_ILS3B_2ES2_S1E_Lb1ELS3D_0EiEES3F_EEENS5_IJiiiEEENS4_INS5_IJNS6_INS5_IJiiiiEEENS5_IJiiiSD_EEELb0EEEEEES1M_S1O_S1N_lEENS_32ThreadwiseTensorSliceTransfer_v2IS3_S3_RKS3M_KS1Q_NSU_IJLi4ELi1ELi2ELi32EEEENSU_IJLi1ELi2ELi0ELi3EEEELi3ELi32ELi0ELb1ELb0ELb0EEENS3A_ILS3B_1EKS3_lLb1ELS3D_0EiEENS5_IJNS_12StaticBufferILS3B_4ES3_Li256ELb1EEES3X_EEES3I_NS_25StaticBufferTupleOfVectorILS3B_4EfLi32ELi8ELb1ELb0EEEEEvRKT1_RKT2_RT3_RKT4_RT5_RKT6_RKT7_RT8_RKT9_RT10_RKT11_RT12_i.num_agpr)
	.set _ZN2ck45kernel_gemm_xdl_cshuffle_v3_b_preshuffle_2ldsINS_41GridwiseGemm_xdl_cshuffle_v3_b_preshuffleINS_13tensor_layout4gemm8RowMajorENS3_11ColumnMajorES4_NS_9f8_fnuz_tENS_7pk_i4_tEfDF16_DF16_NS_16tensor_operation12element_wise11PassThroughESA_SA_LNS8_6device18GemmSpecializationE0ELi256ELi256ELi256ELi128ELi16ELi32ELi16ELi16ELi8ELi4ENS_8SequenceIJLi8ELi32ELi1EEEENSD_IJLi1ELi0ELi2EEEESF_Li2ELi16ELi16ELb0ELi0ENSD_IJLi4ELi64ELi1EEEESF_SF_Li2ELi32ELi32ELb0ELi0ELi1ELi1ENSD_IJLi1ELi32ELi1ELi8EEEELi4ELNS_26BlockGemmPipelineSchedulerE0ELNS_24BlockGemmPipelineVersionE2ES6_S6_Lb0ELb0ELi0EEELb1ELNS_25InMemoryDataOperationEnumE0ELi1ELNS_10TailNumberE0EEEvNT_8ArgumentE.numbered_sgpr, max(33, .L_ZNK2ck52BlockwiseGemmXdlops_pipeline_bpreshuffle_bdequant_v3ILNS_26BlockGemmPipelineSchedulerE0ELi256ENS_9f8_fnuz_tENS_7pk_i4_tES2_fNS_16TensorDescriptorINS_5TupleIJNS_5EmbedINS5_IJNS_17integral_constantIiLi8EEENS7_IiLi256EEENS7_IiLi16EEEEEENS5_IJSA_NS7_IiLi128EEENS7_IiLi1EEEEEELb0EEENS_3XorINS5_IJS9_S8_EEELb1EEENS_11PassThroughISA_EENS_7UnMergeINS5_IJS8_SD_EEELb0EEENSJ_IS9_EESK_NSJ_IS8_EENS_21Merge_v3_division_modINS5_IJS9_SD_EEEEESK_EEENS5_IJNS_8SequenceIJLi0EEEENSU_IJLi2ELi1EEEENSU_IJLi3EEEENSU_IJLi5EEEENSU_IJLi4EEEENSU_IJLi6EEEENSU_IJLi7EEEENSU_IJLi9ELi8EEEENSU_IJLi10EEEEEEENS5_IJNSU_IJLi1ELi2ELi3EEEENSU_IJLi4ELi5EEEES10_NSU_IJLi7ELi8EEEENSU_IJLi9EEEES13_NSU_IJLi11EEEENSU_IJLi12EEEENSU_IJLi13EEEEEEENSU_IJLi11ELi12ELi13EEEENS7_IlLl32768EEEEENS4_INS5_IJNSL_INS5_IJNS7_IiLi4EEESD_NS7_IiLi2EEENS7_IiLi32EEEEEELb0EEEEEENS5_IJSV_EEENS5_IJNSU_IJLi1ELi2ELi3ELi4EEEEEEES1N_NS7_IlLl256EEEEENS4_INS5_IJSF_SI_SK_SN_SO_SK_SP_SS_SK_NSQ_INS5_IJS8_SA_EEEEENSL_INS5_IJS8_S1H_SA_EEELb0EEEEEENS5_IJSV_SW_SX_SY_SZ_S10_S11_S12_S13_NSU_IJLi11ELi13EEEES1A_EEENS5_IJS15_S16_S10_S17_S18_S13_S19_S1A_S1B_NSU_IJLi14EEEENSU_IJLi15ELi16ELi17EEEEEEENSU_IJLi15ELi16ELi17ELi14EEEES1E_EENS4_INS5_IJS1K_NSQ_INS5_IJS1G_S1H_EEEEENSL_INS5_IJS1G_S1G_SA_EEELb0EEEEEENS5_IJSV_NSU_IJLi1ELi3EEEENSU_IJLi2EEEEEEENS5_IJS1N_SY_NSU_IJLi6ELi7ELi8EEEEEEENSU_IJLi6ELi7ELi8ELi5EEEES1P_EELi16ELi32ELi256ELi256ELi128ELi16ELi16ELi8ELi4ELi32ELb0EE3RunILb1ELNS_10TailNumberE0ENS4_INS5_IJNS6_INS5_IJiiEEENS5_IJiSD_EEELb0EEENSL_IS2I_Lb0EEENSJ_IiEEEEENS5_IJSV_S29_NSU_IJLi1EEEEEEENS5_IJNSU_IJLi1ELi2EEEENSU_IJLi3ELi4EEEESY_EEENSU_IJLi3ELi5ELi4EEEElEES1F_NS_35ThreadGroupTensorSliceTransfer_v4r1INS_15ThisThreadBlockILi256EEENS_16tensor_operation12element_wise11PassThroughES30_LNS_25InMemoryDataOperationEnumE0ENSU_IJLi8ELi256ELi16EEEENSU_IJLi8ELi32ELi1EEEENSU_IJLi1ELi0ELi2EEEES2_S2_RKS2U_KS1F_S34_NSU_IJLi0ELi1ELi2EEEELi2ELi2ELi16ELi16ELi1ELi1ELb0ELb1ELi2EiEENS_13DynamicBufferILNS_16AddressSpaceEnumE1EKS2_lLb1ELNS_22AmdBufferCoherenceEnumE0EiEENS5_IJNS3A_ILS3B_2ES2_S1E_Lb1ELS3D_0EiEES3F_EEENS5_IJiiiEEENS4_INS5_IJNS6_INS5_IJiiiiEEENS5_IJiiiSD_EEELb0EEEEEES1M_S1O_S1N_lEENS_32ThreadwiseTensorSliceTransfer_v2IS3_S3_RKS3M_KS1Q_NSU_IJLi4ELi1ELi2ELi32EEEENSU_IJLi1ELi2ELi0ELi3EEEELi3ELi32ELi0ELb1ELb0ELb0EEENS3A_ILS3B_1EKS3_lLb1ELS3D_0EiEENS5_IJNS_12StaticBufferILS3B_4ES3_Li256ELb1EEES3X_EEES3I_NS_25StaticBufferTupleOfVectorILS3B_4EfLi32ELi8ELb1ELb0EEEEEvRKT1_RKT2_RT3_RKT4_RT5_RKT6_RKT7_RT8_RKT9_RT10_RKT11_RT12_i.numbered_sgpr)
	.set _ZN2ck45kernel_gemm_xdl_cshuffle_v3_b_preshuffle_2ldsINS_41GridwiseGemm_xdl_cshuffle_v3_b_preshuffleINS_13tensor_layout4gemm8RowMajorENS3_11ColumnMajorES4_NS_9f8_fnuz_tENS_7pk_i4_tEfDF16_DF16_NS_16tensor_operation12element_wise11PassThroughESA_SA_LNS8_6device18GemmSpecializationE0ELi256ELi256ELi256ELi128ELi16ELi32ELi16ELi16ELi8ELi4ENS_8SequenceIJLi8ELi32ELi1EEEENSD_IJLi1ELi0ELi2EEEESF_Li2ELi16ELi16ELb0ELi0ENSD_IJLi4ELi64ELi1EEEESF_SF_Li2ELi32ELi32ELb0ELi0ELi1ELi1ENSD_IJLi1ELi32ELi1ELi8EEEELi4ELNS_26BlockGemmPipelineSchedulerE0ELNS_24BlockGemmPipelineVersionE2ES6_S6_Lb0ELb0ELi0EEELb1ELNS_25InMemoryDataOperationEnumE0ELi1ELNS_10TailNumberE0EEEvNT_8ArgumentE.num_named_barrier, max(0, .L_ZNK2ck52BlockwiseGemmXdlops_pipeline_bpreshuffle_bdequant_v3ILNS_26BlockGemmPipelineSchedulerE0ELi256ENS_9f8_fnuz_tENS_7pk_i4_tES2_fNS_16TensorDescriptorINS_5TupleIJNS_5EmbedINS5_IJNS_17integral_constantIiLi8EEENS7_IiLi256EEENS7_IiLi16EEEEEENS5_IJSA_NS7_IiLi128EEENS7_IiLi1EEEEEELb0EEENS_3XorINS5_IJS9_S8_EEELb1EEENS_11PassThroughISA_EENS_7UnMergeINS5_IJS8_SD_EEELb0EEENSJ_IS9_EESK_NSJ_IS8_EENS_21Merge_v3_division_modINS5_IJS9_SD_EEEEESK_EEENS5_IJNS_8SequenceIJLi0EEEENSU_IJLi2ELi1EEEENSU_IJLi3EEEENSU_IJLi5EEEENSU_IJLi4EEEENSU_IJLi6EEEENSU_IJLi7EEEENSU_IJLi9ELi8EEEENSU_IJLi10EEEEEEENS5_IJNSU_IJLi1ELi2ELi3EEEENSU_IJLi4ELi5EEEES10_NSU_IJLi7ELi8EEEENSU_IJLi9EEEES13_NSU_IJLi11EEEENSU_IJLi12EEEENSU_IJLi13EEEEEEENSU_IJLi11ELi12ELi13EEEENS7_IlLl32768EEEEENS4_INS5_IJNSL_INS5_IJNS7_IiLi4EEESD_NS7_IiLi2EEENS7_IiLi32EEEEEELb0EEEEEENS5_IJSV_EEENS5_IJNSU_IJLi1ELi2ELi3ELi4EEEEEEES1N_NS7_IlLl256EEEEENS4_INS5_IJSF_SI_SK_SN_SO_SK_SP_SS_SK_NSQ_INS5_IJS8_SA_EEEEENSL_INS5_IJS8_S1H_SA_EEELb0EEEEEENS5_IJSV_SW_SX_SY_SZ_S10_S11_S12_S13_NSU_IJLi11ELi13EEEES1A_EEENS5_IJS15_S16_S10_S17_S18_S13_S19_S1A_S1B_NSU_IJLi14EEEENSU_IJLi15ELi16ELi17EEEEEEENSU_IJLi15ELi16ELi17ELi14EEEES1E_EENS4_INS5_IJS1K_NSQ_INS5_IJS1G_S1H_EEEEENSL_INS5_IJS1G_S1G_SA_EEELb0EEEEEENS5_IJSV_NSU_IJLi1ELi3EEEENSU_IJLi2EEEEEEENS5_IJS1N_SY_NSU_IJLi6ELi7ELi8EEEEEEENSU_IJLi6ELi7ELi8ELi5EEEES1P_EELi16ELi32ELi256ELi256ELi128ELi16ELi16ELi8ELi4ELi32ELb0EE3RunILb1ELNS_10TailNumberE0ENS4_INS5_IJNS6_INS5_IJiiEEENS5_IJiSD_EEELb0EEENSL_IS2I_Lb0EEENSJ_IiEEEEENS5_IJSV_S29_NSU_IJLi1EEEEEEENS5_IJNSU_IJLi1ELi2EEEENSU_IJLi3ELi4EEEESY_EEENSU_IJLi3ELi5ELi4EEEElEES1F_NS_35ThreadGroupTensorSliceTransfer_v4r1INS_15ThisThreadBlockILi256EEENS_16tensor_operation12element_wise11PassThroughES30_LNS_25InMemoryDataOperationEnumE0ENSU_IJLi8ELi256ELi16EEEENSU_IJLi8ELi32ELi1EEEENSU_IJLi1ELi0ELi2EEEES2_S2_RKS2U_KS1F_S34_NSU_IJLi0ELi1ELi2EEEELi2ELi2ELi16ELi16ELi1ELi1ELb0ELb1ELi2EiEENS_13DynamicBufferILNS_16AddressSpaceEnumE1EKS2_lLb1ELNS_22AmdBufferCoherenceEnumE0EiEENS5_IJNS3A_ILS3B_2ES2_S1E_Lb1ELS3D_0EiEES3F_EEENS5_IJiiiEEENS4_INS5_IJNS6_INS5_IJiiiiEEENS5_IJiiiSD_EEELb0EEEEEES1M_S1O_S1N_lEENS_32ThreadwiseTensorSliceTransfer_v2IS3_S3_RKS3M_KS1Q_NSU_IJLi4ELi1ELi2ELi32EEEENSU_IJLi1ELi2ELi0ELi3EEEELi3ELi32ELi0ELb1ELb0ELb0EEENS3A_ILS3B_1EKS3_lLb1ELS3D_0EiEENS5_IJNS_12StaticBufferILS3B_4ES3_Li256ELb1EEES3X_EEES3I_NS_25StaticBufferTupleOfVectorILS3B_4EfLi32ELi8ELb1ELb0EEEEEvRKT1_RKT2_RT3_RKT4_RT5_RKT6_RKT7_RT8_RKT9_RT10_RKT11_RT12_i.num_named_barrier)
	.set _ZN2ck45kernel_gemm_xdl_cshuffle_v3_b_preshuffle_2ldsINS_41GridwiseGemm_xdl_cshuffle_v3_b_preshuffleINS_13tensor_layout4gemm8RowMajorENS3_11ColumnMajorES4_NS_9f8_fnuz_tENS_7pk_i4_tEfDF16_DF16_NS_16tensor_operation12element_wise11PassThroughESA_SA_LNS8_6device18GemmSpecializationE0ELi256ELi256ELi256ELi128ELi16ELi32ELi16ELi16ELi8ELi4ENS_8SequenceIJLi8ELi32ELi1EEEENSD_IJLi1ELi0ELi2EEEESF_Li2ELi16ELi16ELb0ELi0ENSD_IJLi4ELi64ELi1EEEESF_SF_Li2ELi32ELi32ELb0ELi0ELi1ELi1ENSD_IJLi1ELi32ELi1ELi8EEEELi4ELNS_26BlockGemmPipelineSchedulerE0ELNS_24BlockGemmPipelineVersionE2ES6_S6_Lb0ELb0ELi0EEELb1ELNS_25InMemoryDataOperationEnumE0ELi1ELNS_10TailNumberE0EEEvNT_8ArgumentE.private_seg_size, 3360+max(.L_ZNK2ck52BlockwiseGemmXdlops_pipeline_bpreshuffle_bdequant_v3ILNS_26BlockGemmPipelineSchedulerE0ELi256ENS_9f8_fnuz_tENS_7pk_i4_tES2_fNS_16TensorDescriptorINS_5TupleIJNS_5EmbedINS5_IJNS_17integral_constantIiLi8EEENS7_IiLi256EEENS7_IiLi16EEEEEENS5_IJSA_NS7_IiLi128EEENS7_IiLi1EEEEEELb0EEENS_3XorINS5_IJS9_S8_EEELb1EEENS_11PassThroughISA_EENS_7UnMergeINS5_IJS8_SD_EEELb0EEENSJ_IS9_EESK_NSJ_IS8_EENS_21Merge_v3_division_modINS5_IJS9_SD_EEEEESK_EEENS5_IJNS_8SequenceIJLi0EEEENSU_IJLi2ELi1EEEENSU_IJLi3EEEENSU_IJLi5EEEENSU_IJLi4EEEENSU_IJLi6EEEENSU_IJLi7EEEENSU_IJLi9ELi8EEEENSU_IJLi10EEEEEEENS5_IJNSU_IJLi1ELi2ELi3EEEENSU_IJLi4ELi5EEEES10_NSU_IJLi7ELi8EEEENSU_IJLi9EEEES13_NSU_IJLi11EEEENSU_IJLi12EEEENSU_IJLi13EEEEEEENSU_IJLi11ELi12ELi13EEEENS7_IlLl32768EEEEENS4_INS5_IJNSL_INS5_IJNS7_IiLi4EEESD_NS7_IiLi2EEENS7_IiLi32EEEEEELb0EEEEEENS5_IJSV_EEENS5_IJNSU_IJLi1ELi2ELi3ELi4EEEEEEES1N_NS7_IlLl256EEEEENS4_INS5_IJSF_SI_SK_SN_SO_SK_SP_SS_SK_NSQ_INS5_IJS8_SA_EEEEENSL_INS5_IJS8_S1H_SA_EEELb0EEEEEENS5_IJSV_SW_SX_SY_SZ_S10_S11_S12_S13_NSU_IJLi11ELi13EEEES1A_EEENS5_IJS15_S16_S10_S17_S18_S13_S19_S1A_S1B_NSU_IJLi14EEEENSU_IJLi15ELi16ELi17EEEEEEENSU_IJLi15ELi16ELi17ELi14EEEES1E_EENS4_INS5_IJS1K_NSQ_INS5_IJS1G_S1H_EEEEENSL_INS5_IJS1G_S1G_SA_EEELb0EEEEEENS5_IJSV_NSU_IJLi1ELi3EEEENSU_IJLi2EEEEEEENS5_IJS1N_SY_NSU_IJLi6ELi7ELi8EEEEEEENSU_IJLi6ELi7ELi8ELi5EEEES1P_EELi16ELi32ELi256ELi256ELi128ELi16ELi16ELi8ELi4ELi32ELb0EE3RunILb1ELNS_10TailNumberE0ENS4_INS5_IJNS6_INS5_IJiiEEENS5_IJiSD_EEELb0EEENSL_IS2I_Lb0EEENSJ_IiEEEEENS5_IJSV_S29_NSU_IJLi1EEEEEEENS5_IJNSU_IJLi1ELi2EEEENSU_IJLi3ELi4EEEESY_EEENSU_IJLi3ELi5ELi4EEEElEES1F_NS_35ThreadGroupTensorSliceTransfer_v4r1INS_15ThisThreadBlockILi256EEENS_16tensor_operation12element_wise11PassThroughES30_LNS_25InMemoryDataOperationEnumE0ENSU_IJLi8ELi256ELi16EEEENSU_IJLi8ELi32ELi1EEEENSU_IJLi1ELi0ELi2EEEES2_S2_RKS2U_KS1F_S34_NSU_IJLi0ELi1ELi2EEEELi2ELi2ELi16ELi16ELi1ELi1ELb0ELb1ELi2EiEENS_13DynamicBufferILNS_16AddressSpaceEnumE1EKS2_lLb1ELNS_22AmdBufferCoherenceEnumE0EiEENS5_IJNS3A_ILS3B_2ES2_S1E_Lb1ELS3D_0EiEES3F_EEENS5_IJiiiEEENS4_INS5_IJNS6_INS5_IJiiiiEEENS5_IJiiiSD_EEELb0EEEEEES1M_S1O_S1N_lEENS_32ThreadwiseTensorSliceTransfer_v2IS3_S3_RKS3M_KS1Q_NSU_IJLi4ELi1ELi2ELi32EEEENSU_IJLi1ELi2ELi0ELi3EEEELi3ELi32ELi0ELb1ELb0ELb0EEENS3A_ILS3B_1EKS3_lLb1ELS3D_0EiEENS5_IJNS_12StaticBufferILS3B_4ES3_Li256ELb1EEES3X_EEES3I_NS_25StaticBufferTupleOfVectorILS3B_4EfLi32ELi8ELb1ELb0EEEEEvRKT1_RKT2_RT3_RKT4_RT5_RKT6_RKT7_RT8_RKT9_RT10_RKT11_RT12_i.private_seg_size)
	.set _ZN2ck45kernel_gemm_xdl_cshuffle_v3_b_preshuffle_2ldsINS_41GridwiseGemm_xdl_cshuffle_v3_b_preshuffleINS_13tensor_layout4gemm8RowMajorENS3_11ColumnMajorES4_NS_9f8_fnuz_tENS_7pk_i4_tEfDF16_DF16_NS_16tensor_operation12element_wise11PassThroughESA_SA_LNS8_6device18GemmSpecializationE0ELi256ELi256ELi256ELi128ELi16ELi32ELi16ELi16ELi8ELi4ENS_8SequenceIJLi8ELi32ELi1EEEENSD_IJLi1ELi0ELi2EEEESF_Li2ELi16ELi16ELb0ELi0ENSD_IJLi4ELi64ELi1EEEESF_SF_Li2ELi32ELi32ELb0ELi0ELi1ELi1ENSD_IJLi1ELi32ELi1ELi8EEEELi4ELNS_26BlockGemmPipelineSchedulerE0ELNS_24BlockGemmPipelineVersionE2ES6_S6_Lb0ELb0ELi0EEELb1ELNS_25InMemoryDataOperationEnumE0ELi1ELNS_10TailNumberE0EEEvNT_8ArgumentE.uses_vcc, or(1, .L_ZNK2ck52BlockwiseGemmXdlops_pipeline_bpreshuffle_bdequant_v3ILNS_26BlockGemmPipelineSchedulerE0ELi256ENS_9f8_fnuz_tENS_7pk_i4_tES2_fNS_16TensorDescriptorINS_5TupleIJNS_5EmbedINS5_IJNS_17integral_constantIiLi8EEENS7_IiLi256EEENS7_IiLi16EEEEEENS5_IJSA_NS7_IiLi128EEENS7_IiLi1EEEEEELb0EEENS_3XorINS5_IJS9_S8_EEELb1EEENS_11PassThroughISA_EENS_7UnMergeINS5_IJS8_SD_EEELb0EEENSJ_IS9_EESK_NSJ_IS8_EENS_21Merge_v3_division_modINS5_IJS9_SD_EEEEESK_EEENS5_IJNS_8SequenceIJLi0EEEENSU_IJLi2ELi1EEEENSU_IJLi3EEEENSU_IJLi5EEEENSU_IJLi4EEEENSU_IJLi6EEEENSU_IJLi7EEEENSU_IJLi9ELi8EEEENSU_IJLi10EEEEEEENS5_IJNSU_IJLi1ELi2ELi3EEEENSU_IJLi4ELi5EEEES10_NSU_IJLi7ELi8EEEENSU_IJLi9EEEES13_NSU_IJLi11EEEENSU_IJLi12EEEENSU_IJLi13EEEEEEENSU_IJLi11ELi12ELi13EEEENS7_IlLl32768EEEEENS4_INS5_IJNSL_INS5_IJNS7_IiLi4EEESD_NS7_IiLi2EEENS7_IiLi32EEEEEELb0EEEEEENS5_IJSV_EEENS5_IJNSU_IJLi1ELi2ELi3ELi4EEEEEEES1N_NS7_IlLl256EEEEENS4_INS5_IJSF_SI_SK_SN_SO_SK_SP_SS_SK_NSQ_INS5_IJS8_SA_EEEEENSL_INS5_IJS8_S1H_SA_EEELb0EEEEEENS5_IJSV_SW_SX_SY_SZ_S10_S11_S12_S13_NSU_IJLi11ELi13EEEES1A_EEENS5_IJS15_S16_S10_S17_S18_S13_S19_S1A_S1B_NSU_IJLi14EEEENSU_IJLi15ELi16ELi17EEEEEEENSU_IJLi15ELi16ELi17ELi14EEEES1E_EENS4_INS5_IJS1K_NSQ_INS5_IJS1G_S1H_EEEEENSL_INS5_IJS1G_S1G_SA_EEELb0EEEEEENS5_IJSV_NSU_IJLi1ELi3EEEENSU_IJLi2EEEEEEENS5_IJS1N_SY_NSU_IJLi6ELi7ELi8EEEEEEENSU_IJLi6ELi7ELi8ELi5EEEES1P_EELi16ELi32ELi256ELi256ELi128ELi16ELi16ELi8ELi4ELi32ELb0EE3RunILb1ELNS_10TailNumberE0ENS4_INS5_IJNS6_INS5_IJiiEEENS5_IJiSD_EEELb0EEENSL_IS2I_Lb0EEENSJ_IiEEEEENS5_IJSV_S29_NSU_IJLi1EEEEEEENS5_IJNSU_IJLi1ELi2EEEENSU_IJLi3ELi4EEEESY_EEENSU_IJLi3ELi5ELi4EEEElEES1F_NS_35ThreadGroupTensorSliceTransfer_v4r1INS_15ThisThreadBlockILi256EEENS_16tensor_operation12element_wise11PassThroughES30_LNS_25InMemoryDataOperationEnumE0ENSU_IJLi8ELi256ELi16EEEENSU_IJLi8ELi32ELi1EEEENSU_IJLi1ELi0ELi2EEEES2_S2_RKS2U_KS1F_S34_NSU_IJLi0ELi1ELi2EEEELi2ELi2ELi16ELi16ELi1ELi1ELb0ELb1ELi2EiEENS_13DynamicBufferILNS_16AddressSpaceEnumE1EKS2_lLb1ELNS_22AmdBufferCoherenceEnumE0EiEENS5_IJNS3A_ILS3B_2ES2_S1E_Lb1ELS3D_0EiEES3F_EEENS5_IJiiiEEENS4_INS5_IJNS6_INS5_IJiiiiEEENS5_IJiiiSD_EEELb0EEEEEES1M_S1O_S1N_lEENS_32ThreadwiseTensorSliceTransfer_v2IS3_S3_RKS3M_KS1Q_NSU_IJLi4ELi1ELi2ELi32EEEENSU_IJLi1ELi2ELi0ELi3EEEELi3ELi32ELi0ELb1ELb0ELb0EEENS3A_ILS3B_1EKS3_lLb1ELS3D_0EiEENS5_IJNS_12StaticBufferILS3B_4ES3_Li256ELb1EEES3X_EEES3I_NS_25StaticBufferTupleOfVectorILS3B_4EfLi32ELi8ELb1ELb0EEEEEvRKT1_RKT2_RT3_RKT4_RT5_RKT6_RKT7_RT8_RKT9_RT10_RKT11_RT12_i.uses_vcc)
	.set _ZN2ck45kernel_gemm_xdl_cshuffle_v3_b_preshuffle_2ldsINS_41GridwiseGemm_xdl_cshuffle_v3_b_preshuffleINS_13tensor_layout4gemm8RowMajorENS3_11ColumnMajorES4_NS_9f8_fnuz_tENS_7pk_i4_tEfDF16_DF16_NS_16tensor_operation12element_wise11PassThroughESA_SA_LNS8_6device18GemmSpecializationE0ELi256ELi256ELi256ELi128ELi16ELi32ELi16ELi16ELi8ELi4ENS_8SequenceIJLi8ELi32ELi1EEEENSD_IJLi1ELi0ELi2EEEESF_Li2ELi16ELi16ELb0ELi0ENSD_IJLi4ELi64ELi1EEEESF_SF_Li2ELi32ELi32ELb0ELi0ELi1ELi1ENSD_IJLi1ELi32ELi1ELi8EEEELi4ELNS_26BlockGemmPipelineSchedulerE0ELNS_24BlockGemmPipelineVersionE2ES6_S6_Lb0ELb0ELi0EEELb1ELNS_25InMemoryDataOperationEnumE0ELi1ELNS_10TailNumberE0EEEvNT_8ArgumentE.uses_flat_scratch, or(1, .L_ZNK2ck52BlockwiseGemmXdlops_pipeline_bpreshuffle_bdequant_v3ILNS_26BlockGemmPipelineSchedulerE0ELi256ENS_9f8_fnuz_tENS_7pk_i4_tES2_fNS_16TensorDescriptorINS_5TupleIJNS_5EmbedINS5_IJNS_17integral_constantIiLi8EEENS7_IiLi256EEENS7_IiLi16EEEEEENS5_IJSA_NS7_IiLi128EEENS7_IiLi1EEEEEELb0EEENS_3XorINS5_IJS9_S8_EEELb1EEENS_11PassThroughISA_EENS_7UnMergeINS5_IJS8_SD_EEELb0EEENSJ_IS9_EESK_NSJ_IS8_EENS_21Merge_v3_division_modINS5_IJS9_SD_EEEEESK_EEENS5_IJNS_8SequenceIJLi0EEEENSU_IJLi2ELi1EEEENSU_IJLi3EEEENSU_IJLi5EEEENSU_IJLi4EEEENSU_IJLi6EEEENSU_IJLi7EEEENSU_IJLi9ELi8EEEENSU_IJLi10EEEEEEENS5_IJNSU_IJLi1ELi2ELi3EEEENSU_IJLi4ELi5EEEES10_NSU_IJLi7ELi8EEEENSU_IJLi9EEEES13_NSU_IJLi11EEEENSU_IJLi12EEEENSU_IJLi13EEEEEEENSU_IJLi11ELi12ELi13EEEENS7_IlLl32768EEEEENS4_INS5_IJNSL_INS5_IJNS7_IiLi4EEESD_NS7_IiLi2EEENS7_IiLi32EEEEEELb0EEEEEENS5_IJSV_EEENS5_IJNSU_IJLi1ELi2ELi3ELi4EEEEEEES1N_NS7_IlLl256EEEEENS4_INS5_IJSF_SI_SK_SN_SO_SK_SP_SS_SK_NSQ_INS5_IJS8_SA_EEEEENSL_INS5_IJS8_S1H_SA_EEELb0EEEEEENS5_IJSV_SW_SX_SY_SZ_S10_S11_S12_S13_NSU_IJLi11ELi13EEEES1A_EEENS5_IJS15_S16_S10_S17_S18_S13_S19_S1A_S1B_NSU_IJLi14EEEENSU_IJLi15ELi16ELi17EEEEEEENSU_IJLi15ELi16ELi17ELi14EEEES1E_EENS4_INS5_IJS1K_NSQ_INS5_IJS1G_S1H_EEEEENSL_INS5_IJS1G_S1G_SA_EEELb0EEEEEENS5_IJSV_NSU_IJLi1ELi3EEEENSU_IJLi2EEEEEEENS5_IJS1N_SY_NSU_IJLi6ELi7ELi8EEEEEEENSU_IJLi6ELi7ELi8ELi5EEEES1P_EELi16ELi32ELi256ELi256ELi128ELi16ELi16ELi8ELi4ELi32ELb0EE3RunILb1ELNS_10TailNumberE0ENS4_INS5_IJNS6_INS5_IJiiEEENS5_IJiSD_EEELb0EEENSL_IS2I_Lb0EEENSJ_IiEEEEENS5_IJSV_S29_NSU_IJLi1EEEEEEENS5_IJNSU_IJLi1ELi2EEEENSU_IJLi3ELi4EEEESY_EEENSU_IJLi3ELi5ELi4EEEElEES1F_NS_35ThreadGroupTensorSliceTransfer_v4r1INS_15ThisThreadBlockILi256EEENS_16tensor_operation12element_wise11PassThroughES30_LNS_25InMemoryDataOperationEnumE0ENSU_IJLi8ELi256ELi16EEEENSU_IJLi8ELi32ELi1EEEENSU_IJLi1ELi0ELi2EEEES2_S2_RKS2U_KS1F_S34_NSU_IJLi0ELi1ELi2EEEELi2ELi2ELi16ELi16ELi1ELi1ELb0ELb1ELi2EiEENS_13DynamicBufferILNS_16AddressSpaceEnumE1EKS2_lLb1ELNS_22AmdBufferCoherenceEnumE0EiEENS5_IJNS3A_ILS3B_2ES2_S1E_Lb1ELS3D_0EiEES3F_EEENS5_IJiiiEEENS4_INS5_IJNS6_INS5_IJiiiiEEENS5_IJiiiSD_EEELb0EEEEEES1M_S1O_S1N_lEENS_32ThreadwiseTensorSliceTransfer_v2IS3_S3_RKS3M_KS1Q_NSU_IJLi4ELi1ELi2ELi32EEEENSU_IJLi1ELi2ELi0ELi3EEEELi3ELi32ELi0ELb1ELb0ELb0EEENS3A_ILS3B_1EKS3_lLb1ELS3D_0EiEENS5_IJNS_12StaticBufferILS3B_4ES3_Li256ELb1EEES3X_EEES3I_NS_25StaticBufferTupleOfVectorILS3B_4EfLi32ELi8ELb1ELb0EEEEEvRKT1_RKT2_RT3_RKT4_RT5_RKT6_RKT7_RT8_RKT9_RT10_RKT11_RT12_i.uses_flat_scratch)
	.set _ZN2ck45kernel_gemm_xdl_cshuffle_v3_b_preshuffle_2ldsINS_41GridwiseGemm_xdl_cshuffle_v3_b_preshuffleINS_13tensor_layout4gemm8RowMajorENS3_11ColumnMajorES4_NS_9f8_fnuz_tENS_7pk_i4_tEfDF16_DF16_NS_16tensor_operation12element_wise11PassThroughESA_SA_LNS8_6device18GemmSpecializationE0ELi256ELi256ELi256ELi128ELi16ELi32ELi16ELi16ELi8ELi4ENS_8SequenceIJLi8ELi32ELi1EEEENSD_IJLi1ELi0ELi2EEEESF_Li2ELi16ELi16ELb0ELi0ENSD_IJLi4ELi64ELi1EEEESF_SF_Li2ELi32ELi32ELb0ELi0ELi1ELi1ENSD_IJLi1ELi32ELi1ELi8EEEELi4ELNS_26BlockGemmPipelineSchedulerE0ELNS_24BlockGemmPipelineVersionE2ES6_S6_Lb0ELb0ELi0EEELb1ELNS_25InMemoryDataOperationEnumE0ELi1ELNS_10TailNumberE0EEEvNT_8ArgumentE.has_dyn_sized_stack, or(0, .L_ZNK2ck52BlockwiseGemmXdlops_pipeline_bpreshuffle_bdequant_v3ILNS_26BlockGemmPipelineSchedulerE0ELi256ENS_9f8_fnuz_tENS_7pk_i4_tES2_fNS_16TensorDescriptorINS_5TupleIJNS_5EmbedINS5_IJNS_17integral_constantIiLi8EEENS7_IiLi256EEENS7_IiLi16EEEEEENS5_IJSA_NS7_IiLi128EEENS7_IiLi1EEEEEELb0EEENS_3XorINS5_IJS9_S8_EEELb1EEENS_11PassThroughISA_EENS_7UnMergeINS5_IJS8_SD_EEELb0EEENSJ_IS9_EESK_NSJ_IS8_EENS_21Merge_v3_division_modINS5_IJS9_SD_EEEEESK_EEENS5_IJNS_8SequenceIJLi0EEEENSU_IJLi2ELi1EEEENSU_IJLi3EEEENSU_IJLi5EEEENSU_IJLi4EEEENSU_IJLi6EEEENSU_IJLi7EEEENSU_IJLi9ELi8EEEENSU_IJLi10EEEEEEENS5_IJNSU_IJLi1ELi2ELi3EEEENSU_IJLi4ELi5EEEES10_NSU_IJLi7ELi8EEEENSU_IJLi9EEEES13_NSU_IJLi11EEEENSU_IJLi12EEEENSU_IJLi13EEEEEEENSU_IJLi11ELi12ELi13EEEENS7_IlLl32768EEEEENS4_INS5_IJNSL_INS5_IJNS7_IiLi4EEESD_NS7_IiLi2EEENS7_IiLi32EEEEEELb0EEEEEENS5_IJSV_EEENS5_IJNSU_IJLi1ELi2ELi3ELi4EEEEEEES1N_NS7_IlLl256EEEEENS4_INS5_IJSF_SI_SK_SN_SO_SK_SP_SS_SK_NSQ_INS5_IJS8_SA_EEEEENSL_INS5_IJS8_S1H_SA_EEELb0EEEEEENS5_IJSV_SW_SX_SY_SZ_S10_S11_S12_S13_NSU_IJLi11ELi13EEEES1A_EEENS5_IJS15_S16_S10_S17_S18_S13_S19_S1A_S1B_NSU_IJLi14EEEENSU_IJLi15ELi16ELi17EEEEEEENSU_IJLi15ELi16ELi17ELi14EEEES1E_EENS4_INS5_IJS1K_NSQ_INS5_IJS1G_S1H_EEEEENSL_INS5_IJS1G_S1G_SA_EEELb0EEEEEENS5_IJSV_NSU_IJLi1ELi3EEEENSU_IJLi2EEEEEEENS5_IJS1N_SY_NSU_IJLi6ELi7ELi8EEEEEEENSU_IJLi6ELi7ELi8ELi5EEEES1P_EELi16ELi32ELi256ELi256ELi128ELi16ELi16ELi8ELi4ELi32ELb0EE3RunILb1ELNS_10TailNumberE0ENS4_INS5_IJNS6_INS5_IJiiEEENS5_IJiSD_EEELb0EEENSL_IS2I_Lb0EEENSJ_IiEEEEENS5_IJSV_S29_NSU_IJLi1EEEEEEENS5_IJNSU_IJLi1ELi2EEEENSU_IJLi3ELi4EEEESY_EEENSU_IJLi3ELi5ELi4EEEElEES1F_NS_35ThreadGroupTensorSliceTransfer_v4r1INS_15ThisThreadBlockILi256EEENS_16tensor_operation12element_wise11PassThroughES30_LNS_25InMemoryDataOperationEnumE0ENSU_IJLi8ELi256ELi16EEEENSU_IJLi8ELi32ELi1EEEENSU_IJLi1ELi0ELi2EEEES2_S2_RKS2U_KS1F_S34_NSU_IJLi0ELi1ELi2EEEELi2ELi2ELi16ELi16ELi1ELi1ELb0ELb1ELi2EiEENS_13DynamicBufferILNS_16AddressSpaceEnumE1EKS2_lLb1ELNS_22AmdBufferCoherenceEnumE0EiEENS5_IJNS3A_ILS3B_2ES2_S1E_Lb1ELS3D_0EiEES3F_EEENS5_IJiiiEEENS4_INS5_IJNS6_INS5_IJiiiiEEENS5_IJiiiSD_EEELb0EEEEEES1M_S1O_S1N_lEENS_32ThreadwiseTensorSliceTransfer_v2IS3_S3_RKS3M_KS1Q_NSU_IJLi4ELi1ELi2ELi32EEEENSU_IJLi1ELi2ELi0ELi3EEEELi3ELi32ELi0ELb1ELb0ELb0EEENS3A_ILS3B_1EKS3_lLb1ELS3D_0EiEENS5_IJNS_12StaticBufferILS3B_4ES3_Li256ELb1EEES3X_EEES3I_NS_25StaticBufferTupleOfVectorILS3B_4EfLi32ELi8ELb1ELb0EEEEEvRKT1_RKT2_RT3_RKT4_RT5_RKT6_RKT7_RT8_RKT9_RT10_RKT11_RT12_i.has_dyn_sized_stack)
	.set _ZN2ck45kernel_gemm_xdl_cshuffle_v3_b_preshuffle_2ldsINS_41GridwiseGemm_xdl_cshuffle_v3_b_preshuffleINS_13tensor_layout4gemm8RowMajorENS3_11ColumnMajorES4_NS_9f8_fnuz_tENS_7pk_i4_tEfDF16_DF16_NS_16tensor_operation12element_wise11PassThroughESA_SA_LNS8_6device18GemmSpecializationE0ELi256ELi256ELi256ELi128ELi16ELi32ELi16ELi16ELi8ELi4ENS_8SequenceIJLi8ELi32ELi1EEEENSD_IJLi1ELi0ELi2EEEESF_Li2ELi16ELi16ELb0ELi0ENSD_IJLi4ELi64ELi1EEEESF_SF_Li2ELi32ELi32ELb0ELi0ELi1ELi1ENSD_IJLi1ELi32ELi1ELi8EEEELi4ELNS_26BlockGemmPipelineSchedulerE0ELNS_24BlockGemmPipelineVersionE2ES6_S6_Lb0ELb0ELi0EEELb1ELNS_25InMemoryDataOperationEnumE0ELi1ELNS_10TailNumberE0EEEvNT_8ArgumentE.has_recursion, or(0, .L_ZNK2ck52BlockwiseGemmXdlops_pipeline_bpreshuffle_bdequant_v3ILNS_26BlockGemmPipelineSchedulerE0ELi256ENS_9f8_fnuz_tENS_7pk_i4_tES2_fNS_16TensorDescriptorINS_5TupleIJNS_5EmbedINS5_IJNS_17integral_constantIiLi8EEENS7_IiLi256EEENS7_IiLi16EEEEEENS5_IJSA_NS7_IiLi128EEENS7_IiLi1EEEEEELb0EEENS_3XorINS5_IJS9_S8_EEELb1EEENS_11PassThroughISA_EENS_7UnMergeINS5_IJS8_SD_EEELb0EEENSJ_IS9_EESK_NSJ_IS8_EENS_21Merge_v3_division_modINS5_IJS9_SD_EEEEESK_EEENS5_IJNS_8SequenceIJLi0EEEENSU_IJLi2ELi1EEEENSU_IJLi3EEEENSU_IJLi5EEEENSU_IJLi4EEEENSU_IJLi6EEEENSU_IJLi7EEEENSU_IJLi9ELi8EEEENSU_IJLi10EEEEEEENS5_IJNSU_IJLi1ELi2ELi3EEEENSU_IJLi4ELi5EEEES10_NSU_IJLi7ELi8EEEENSU_IJLi9EEEES13_NSU_IJLi11EEEENSU_IJLi12EEEENSU_IJLi13EEEEEEENSU_IJLi11ELi12ELi13EEEENS7_IlLl32768EEEEENS4_INS5_IJNSL_INS5_IJNS7_IiLi4EEESD_NS7_IiLi2EEENS7_IiLi32EEEEEELb0EEEEEENS5_IJSV_EEENS5_IJNSU_IJLi1ELi2ELi3ELi4EEEEEEES1N_NS7_IlLl256EEEEENS4_INS5_IJSF_SI_SK_SN_SO_SK_SP_SS_SK_NSQ_INS5_IJS8_SA_EEEEENSL_INS5_IJS8_S1H_SA_EEELb0EEEEEENS5_IJSV_SW_SX_SY_SZ_S10_S11_S12_S13_NSU_IJLi11ELi13EEEES1A_EEENS5_IJS15_S16_S10_S17_S18_S13_S19_S1A_S1B_NSU_IJLi14EEEENSU_IJLi15ELi16ELi17EEEEEEENSU_IJLi15ELi16ELi17ELi14EEEES1E_EENS4_INS5_IJS1K_NSQ_INS5_IJS1G_S1H_EEEEENSL_INS5_IJS1G_S1G_SA_EEELb0EEEEEENS5_IJSV_NSU_IJLi1ELi3EEEENSU_IJLi2EEEEEEENS5_IJS1N_SY_NSU_IJLi6ELi7ELi8EEEEEEENSU_IJLi6ELi7ELi8ELi5EEEES1P_EELi16ELi32ELi256ELi256ELi128ELi16ELi16ELi8ELi4ELi32ELb0EE3RunILb1ELNS_10TailNumberE0ENS4_INS5_IJNS6_INS5_IJiiEEENS5_IJiSD_EEELb0EEENSL_IS2I_Lb0EEENSJ_IiEEEEENS5_IJSV_S29_NSU_IJLi1EEEEEEENS5_IJNSU_IJLi1ELi2EEEENSU_IJLi3ELi4EEEESY_EEENSU_IJLi3ELi5ELi4EEEElEES1F_NS_35ThreadGroupTensorSliceTransfer_v4r1INS_15ThisThreadBlockILi256EEENS_16tensor_operation12element_wise11PassThroughES30_LNS_25InMemoryDataOperationEnumE0ENSU_IJLi8ELi256ELi16EEEENSU_IJLi8ELi32ELi1EEEENSU_IJLi1ELi0ELi2EEEES2_S2_RKS2U_KS1F_S34_NSU_IJLi0ELi1ELi2EEEELi2ELi2ELi16ELi16ELi1ELi1ELb0ELb1ELi2EiEENS_13DynamicBufferILNS_16AddressSpaceEnumE1EKS2_lLb1ELNS_22AmdBufferCoherenceEnumE0EiEENS5_IJNS3A_ILS3B_2ES2_S1E_Lb1ELS3D_0EiEES3F_EEENS5_IJiiiEEENS4_INS5_IJNS6_INS5_IJiiiiEEENS5_IJiiiSD_EEELb0EEEEEES1M_S1O_S1N_lEENS_32ThreadwiseTensorSliceTransfer_v2IS3_S3_RKS3M_KS1Q_NSU_IJLi4ELi1ELi2ELi32EEEENSU_IJLi1ELi2ELi0ELi3EEEELi3ELi32ELi0ELb1ELb0ELb0EEENS3A_ILS3B_1EKS3_lLb1ELS3D_0EiEENS5_IJNS_12StaticBufferILS3B_4ES3_Li256ELb1EEES3X_EEES3I_NS_25StaticBufferTupleOfVectorILS3B_4EfLi32ELi8ELb1ELb0EEEEEvRKT1_RKT2_RT3_RKT4_RT5_RKT6_RKT7_RT8_RKT9_RT10_RKT11_RT12_i.has_recursion)
	.set _ZN2ck45kernel_gemm_xdl_cshuffle_v3_b_preshuffle_2ldsINS_41GridwiseGemm_xdl_cshuffle_v3_b_preshuffleINS_13tensor_layout4gemm8RowMajorENS3_11ColumnMajorES4_NS_9f8_fnuz_tENS_7pk_i4_tEfDF16_DF16_NS_16tensor_operation12element_wise11PassThroughESA_SA_LNS8_6device18GemmSpecializationE0ELi256ELi256ELi256ELi128ELi16ELi32ELi16ELi16ELi8ELi4ENS_8SequenceIJLi8ELi32ELi1EEEENSD_IJLi1ELi0ELi2EEEESF_Li2ELi16ELi16ELb0ELi0ENSD_IJLi4ELi64ELi1EEEESF_SF_Li2ELi32ELi32ELb0ELi0ELi1ELi1ENSD_IJLi1ELi32ELi1ELi8EEEELi4ELNS_26BlockGemmPipelineSchedulerE0ELNS_24BlockGemmPipelineVersionE2ES6_S6_Lb0ELb0ELi0EEELb1ELNS_25InMemoryDataOperationEnumE0ELi1ELNS_10TailNumberE0EEEvNT_8ArgumentE.has_indirect_call, or(0, .L_ZNK2ck52BlockwiseGemmXdlops_pipeline_bpreshuffle_bdequant_v3ILNS_26BlockGemmPipelineSchedulerE0ELi256ENS_9f8_fnuz_tENS_7pk_i4_tES2_fNS_16TensorDescriptorINS_5TupleIJNS_5EmbedINS5_IJNS_17integral_constantIiLi8EEENS7_IiLi256EEENS7_IiLi16EEEEEENS5_IJSA_NS7_IiLi128EEENS7_IiLi1EEEEEELb0EEENS_3XorINS5_IJS9_S8_EEELb1EEENS_11PassThroughISA_EENS_7UnMergeINS5_IJS8_SD_EEELb0EEENSJ_IS9_EESK_NSJ_IS8_EENS_21Merge_v3_division_modINS5_IJS9_SD_EEEEESK_EEENS5_IJNS_8SequenceIJLi0EEEENSU_IJLi2ELi1EEEENSU_IJLi3EEEENSU_IJLi5EEEENSU_IJLi4EEEENSU_IJLi6EEEENSU_IJLi7EEEENSU_IJLi9ELi8EEEENSU_IJLi10EEEEEEENS5_IJNSU_IJLi1ELi2ELi3EEEENSU_IJLi4ELi5EEEES10_NSU_IJLi7ELi8EEEENSU_IJLi9EEEES13_NSU_IJLi11EEEENSU_IJLi12EEEENSU_IJLi13EEEEEEENSU_IJLi11ELi12ELi13EEEENS7_IlLl32768EEEEENS4_INS5_IJNSL_INS5_IJNS7_IiLi4EEESD_NS7_IiLi2EEENS7_IiLi32EEEEEELb0EEEEEENS5_IJSV_EEENS5_IJNSU_IJLi1ELi2ELi3ELi4EEEEEEES1N_NS7_IlLl256EEEEENS4_INS5_IJSF_SI_SK_SN_SO_SK_SP_SS_SK_NSQ_INS5_IJS8_SA_EEEEENSL_INS5_IJS8_S1H_SA_EEELb0EEEEEENS5_IJSV_SW_SX_SY_SZ_S10_S11_S12_S13_NSU_IJLi11ELi13EEEES1A_EEENS5_IJS15_S16_S10_S17_S18_S13_S19_S1A_S1B_NSU_IJLi14EEEENSU_IJLi15ELi16ELi17EEEEEEENSU_IJLi15ELi16ELi17ELi14EEEES1E_EENS4_INS5_IJS1K_NSQ_INS5_IJS1G_S1H_EEEEENSL_INS5_IJS1G_S1G_SA_EEELb0EEEEEENS5_IJSV_NSU_IJLi1ELi3EEEENSU_IJLi2EEEEEEENS5_IJS1N_SY_NSU_IJLi6ELi7ELi8EEEEEEENSU_IJLi6ELi7ELi8ELi5EEEES1P_EELi16ELi32ELi256ELi256ELi128ELi16ELi16ELi8ELi4ELi32ELb0EE3RunILb1ELNS_10TailNumberE0ENS4_INS5_IJNS6_INS5_IJiiEEENS5_IJiSD_EEELb0EEENSL_IS2I_Lb0EEENSJ_IiEEEEENS5_IJSV_S29_NSU_IJLi1EEEEEEENS5_IJNSU_IJLi1ELi2EEEENSU_IJLi3ELi4EEEESY_EEENSU_IJLi3ELi5ELi4EEEElEES1F_NS_35ThreadGroupTensorSliceTransfer_v4r1INS_15ThisThreadBlockILi256EEENS_16tensor_operation12element_wise11PassThroughES30_LNS_25InMemoryDataOperationEnumE0ENSU_IJLi8ELi256ELi16EEEENSU_IJLi8ELi32ELi1EEEENSU_IJLi1ELi0ELi2EEEES2_S2_RKS2U_KS1F_S34_NSU_IJLi0ELi1ELi2EEEELi2ELi2ELi16ELi16ELi1ELi1ELb0ELb1ELi2EiEENS_13DynamicBufferILNS_16AddressSpaceEnumE1EKS2_lLb1ELNS_22AmdBufferCoherenceEnumE0EiEENS5_IJNS3A_ILS3B_2ES2_S1E_Lb1ELS3D_0EiEES3F_EEENS5_IJiiiEEENS4_INS5_IJNS6_INS5_IJiiiiEEENS5_IJiiiSD_EEELb0EEEEEES1M_S1O_S1N_lEENS_32ThreadwiseTensorSliceTransfer_v2IS3_S3_RKS3M_KS1Q_NSU_IJLi4ELi1ELi2ELi32EEEENSU_IJLi1ELi2ELi0ELi3EEEELi3ELi32ELi0ELb1ELb0ELb0EEENS3A_ILS3B_1EKS3_lLb1ELS3D_0EiEENS5_IJNS_12StaticBufferILS3B_4ES3_Li256ELb1EEES3X_EEES3I_NS_25StaticBufferTupleOfVectorILS3B_4EfLi32ELi8ELb1ELb0EEEEEvRKT1_RKT2_RT3_RKT4_RT5_RKT6_RKT7_RT8_RKT9_RT10_RKT11_RT12_i.has_indirect_call)
	.section	.AMDGPU.csdata,"",@progbits
; Kernel info:
; codeLenInByte = 12292
; TotalNumSgprs: 36
; NumVgprs: 152
; ScratchSize: 4400
; MemoryBound: 0
; FloatMode: 240
; IeeeMode: 1
; LDSByteSize: 65536 bytes/workgroup (compile time only)
; SGPRBlocks: 0
; VGPRBlocks: 30
; NumSGPRsForWavesPerEU: 36
; NumVGPRsForWavesPerEU: 241
; Occupancy: 4
; WaveLimiterHint : 1
; COMPUTE_PGM_RSRC2:SCRATCH_EN: 1
; COMPUTE_PGM_RSRC2:USER_SGPR: 2
; COMPUTE_PGM_RSRC2:TRAP_HANDLER: 0
; COMPUTE_PGM_RSRC2:TGID_X_EN: 1
; COMPUTE_PGM_RSRC2:TGID_Y_EN: 0
; COMPUTE_PGM_RSRC2:TGID_Z_EN: 1
; COMPUTE_PGM_RSRC2:TIDIG_COMP_CNT: 0
	.section	.text._ZN2ck45kernel_gemm_xdl_cshuffle_v3_b_preshuffle_2ldsINS_41GridwiseGemm_xdl_cshuffle_v3_b_preshuffleINS_13tensor_layout4gemm8RowMajorENS3_11ColumnMajorES4_NS_9f8_fnuz_tENS_7pk_i4_tEfDF16_DF16_NS_16tensor_operation12element_wise11PassThroughESA_SA_LNS8_6device18GemmSpecializationE0ELi256ELi256ELi256ELi128ELi16ELi32ELi16ELi16ELi8ELi4ENS_8SequenceIJLi8ELi32ELi1EEEENSD_IJLi1ELi0ELi2EEEESF_Li2ELi16ELi16ELb0ELi0ENSD_IJLi4ELi64ELi1EEEESF_SF_Li2ELi32ELi32ELb0ELi0ELi1ELi1ENSD_IJLi1ELi32ELi1ELi8EEEELi4ELNS_26BlockGemmPipelineSchedulerE0ELNS_24BlockGemmPipelineVersionE2ES6_S6_Lb0ELb0ELi0EEELb1ELNS_25InMemoryDataOperationEnumE0ELi1ELNS_10TailNumberE1EEEvNT_8ArgumentE,"axG",@progbits,_ZN2ck45kernel_gemm_xdl_cshuffle_v3_b_preshuffle_2ldsINS_41GridwiseGemm_xdl_cshuffle_v3_b_preshuffleINS_13tensor_layout4gemm8RowMajorENS3_11ColumnMajorES4_NS_9f8_fnuz_tENS_7pk_i4_tEfDF16_DF16_NS_16tensor_operation12element_wise11PassThroughESA_SA_LNS8_6device18GemmSpecializationE0ELi256ELi256ELi256ELi128ELi16ELi32ELi16ELi16ELi8ELi4ENS_8SequenceIJLi8ELi32ELi1EEEENSD_IJLi1ELi0ELi2EEEESF_Li2ELi16ELi16ELb0ELi0ENSD_IJLi4ELi64ELi1EEEESF_SF_Li2ELi32ELi32ELb0ELi0ELi1ELi1ENSD_IJLi1ELi32ELi1ELi8EEEELi4ELNS_26BlockGemmPipelineSchedulerE0ELNS_24BlockGemmPipelineVersionE2ES6_S6_Lb0ELb0ELi0EEELb1ELNS_25InMemoryDataOperationEnumE0ELi1ELNS_10TailNumberE1EEEvNT_8ArgumentE,comdat
	.protected	_ZN2ck45kernel_gemm_xdl_cshuffle_v3_b_preshuffle_2ldsINS_41GridwiseGemm_xdl_cshuffle_v3_b_preshuffleINS_13tensor_layout4gemm8RowMajorENS3_11ColumnMajorES4_NS_9f8_fnuz_tENS_7pk_i4_tEfDF16_DF16_NS_16tensor_operation12element_wise11PassThroughESA_SA_LNS8_6device18GemmSpecializationE0ELi256ELi256ELi256ELi128ELi16ELi32ELi16ELi16ELi8ELi4ENS_8SequenceIJLi8ELi32ELi1EEEENSD_IJLi1ELi0ELi2EEEESF_Li2ELi16ELi16ELb0ELi0ENSD_IJLi4ELi64ELi1EEEESF_SF_Li2ELi32ELi32ELb0ELi0ELi1ELi1ENSD_IJLi1ELi32ELi1ELi8EEEELi4ELNS_26BlockGemmPipelineSchedulerE0ELNS_24BlockGemmPipelineVersionE2ES6_S6_Lb0ELb0ELi0EEELb1ELNS_25InMemoryDataOperationEnumE0ELi1ELNS_10TailNumberE1EEEvNT_8ArgumentE ; -- Begin function _ZN2ck45kernel_gemm_xdl_cshuffle_v3_b_preshuffle_2ldsINS_41GridwiseGemm_xdl_cshuffle_v3_b_preshuffleINS_13tensor_layout4gemm8RowMajorENS3_11ColumnMajorES4_NS_9f8_fnuz_tENS_7pk_i4_tEfDF16_DF16_NS_16tensor_operation12element_wise11PassThroughESA_SA_LNS8_6device18GemmSpecializationE0ELi256ELi256ELi256ELi128ELi16ELi32ELi16ELi16ELi8ELi4ENS_8SequenceIJLi8ELi32ELi1EEEENSD_IJLi1ELi0ELi2EEEESF_Li2ELi16ELi16ELb0ELi0ENSD_IJLi4ELi64ELi1EEEESF_SF_Li2ELi32ELi32ELb0ELi0ELi1ELi1ENSD_IJLi1ELi32ELi1ELi8EEEELi4ELNS_26BlockGemmPipelineSchedulerE0ELNS_24BlockGemmPipelineVersionE2ES6_S6_Lb0ELb0ELi0EEELb1ELNS_25InMemoryDataOperationEnumE0ELi1ELNS_10TailNumberE1EEEvNT_8ArgumentE
	.globl	_ZN2ck45kernel_gemm_xdl_cshuffle_v3_b_preshuffle_2ldsINS_41GridwiseGemm_xdl_cshuffle_v3_b_preshuffleINS_13tensor_layout4gemm8RowMajorENS3_11ColumnMajorES4_NS_9f8_fnuz_tENS_7pk_i4_tEfDF16_DF16_NS_16tensor_operation12element_wise11PassThroughESA_SA_LNS8_6device18GemmSpecializationE0ELi256ELi256ELi256ELi128ELi16ELi32ELi16ELi16ELi8ELi4ENS_8SequenceIJLi8ELi32ELi1EEEENSD_IJLi1ELi0ELi2EEEESF_Li2ELi16ELi16ELb0ELi0ENSD_IJLi4ELi64ELi1EEEESF_SF_Li2ELi32ELi32ELb0ELi0ELi1ELi1ENSD_IJLi1ELi32ELi1ELi8EEEELi4ELNS_26BlockGemmPipelineSchedulerE0ELNS_24BlockGemmPipelineVersionE2ES6_S6_Lb0ELb0ELi0EEELb1ELNS_25InMemoryDataOperationEnumE0ELi1ELNS_10TailNumberE1EEEvNT_8ArgumentE
	.p2align	8
	.type	_ZN2ck45kernel_gemm_xdl_cshuffle_v3_b_preshuffle_2ldsINS_41GridwiseGemm_xdl_cshuffle_v3_b_preshuffleINS_13tensor_layout4gemm8RowMajorENS3_11ColumnMajorES4_NS_9f8_fnuz_tENS_7pk_i4_tEfDF16_DF16_NS_16tensor_operation12element_wise11PassThroughESA_SA_LNS8_6device18GemmSpecializationE0ELi256ELi256ELi256ELi128ELi16ELi32ELi16ELi16ELi8ELi4ENS_8SequenceIJLi8ELi32ELi1EEEENSD_IJLi1ELi0ELi2EEEESF_Li2ELi16ELi16ELb0ELi0ENSD_IJLi4ELi64ELi1EEEESF_SF_Li2ELi32ELi32ELb0ELi0ELi1ELi1ENSD_IJLi1ELi32ELi1ELi8EEEELi4ELNS_26BlockGemmPipelineSchedulerE0ELNS_24BlockGemmPipelineVersionE2ES6_S6_Lb0ELb0ELi0EEELb1ELNS_25InMemoryDataOperationEnumE0ELi1ELNS_10TailNumberE1EEEvNT_8ArgumentE,@function
_ZN2ck45kernel_gemm_xdl_cshuffle_v3_b_preshuffle_2ldsINS_41GridwiseGemm_xdl_cshuffle_v3_b_preshuffleINS_13tensor_layout4gemm8RowMajorENS3_11ColumnMajorES4_NS_9f8_fnuz_tENS_7pk_i4_tEfDF16_DF16_NS_16tensor_operation12element_wise11PassThroughESA_SA_LNS8_6device18GemmSpecializationE0ELi256ELi256ELi256ELi128ELi16ELi32ELi16ELi16ELi8ELi4ENS_8SequenceIJLi8ELi32ELi1EEEENSD_IJLi1ELi0ELi2EEEESF_Li2ELi16ELi16ELb0ELi0ENSD_IJLi4ELi64ELi1EEEESF_SF_Li2ELi32ELi32ELb0ELi0ELi1ELi1ENSD_IJLi1ELi32ELi1ELi8EEEELi4ELNS_26BlockGemmPipelineSchedulerE0ELNS_24BlockGemmPipelineVersionE2ES6_S6_Lb0ELb0ELi0EEELb1ELNS_25InMemoryDataOperationEnumE0ELi1ELNS_10TailNumberE1EEEvNT_8ArgumentE: ; @_ZN2ck45kernel_gemm_xdl_cshuffle_v3_b_preshuffle_2ldsINS_41GridwiseGemm_xdl_cshuffle_v3_b_preshuffleINS_13tensor_layout4gemm8RowMajorENS3_11ColumnMajorES4_NS_9f8_fnuz_tENS_7pk_i4_tEfDF16_DF16_NS_16tensor_operation12element_wise11PassThroughESA_SA_LNS8_6device18GemmSpecializationE0ELi256ELi256ELi256ELi128ELi16ELi32ELi16ELi16ELi8ELi4ENS_8SequenceIJLi8ELi32ELi1EEEENSD_IJLi1ELi0ELi2EEEESF_Li2ELi16ELi16ELb0ELi0ENSD_IJLi4ELi64ELi1EEEESF_SF_Li2ELi32ELi32ELb0ELi0ELi1ELi1ENSD_IJLi1ELi32ELi1ELi8EEEELi4ELNS_26BlockGemmPipelineSchedulerE0ELNS_24BlockGemmPipelineVersionE2ES6_S6_Lb0ELb0ELi0EEELb1ELNS_25InMemoryDataOperationEnumE0ELi1ELNS_10TailNumberE1EEEvNT_8ArgumentE
; %bb.0:
	s_clause 0x5
	s_load_b64 s[18:19], s[0:1], 0x24
	s_load_b96 s[4:6], s[0:1], 0x60
	s_load_b128 s[20:23], s[0:1], 0x10
	s_load_b32 s7, s[0:1], 0x34
	s_load_b32 s12, s[0:1], 0x3c
	s_load_b128 s[0:3], s[0:1], 0x50
	s_lshr_b32 s13, ttmp7, 16
	v_mov_b32_e32 v41, v0
	s_mov_b32 s17, ttmp9
	s_movk_i32 s32, 0xd20
	s_wait_kmcnt 0x0
	s_cmp_gt_i32 s19, 1
	s_cselect_b32 s8, -1, 0
	s_bitcmp1_b32 s6, 0
	s_cselect_b32 s6, -1, 0
	s_delay_alu instid0(SALU_CYCLE_1)
	s_and_b32 s6, s8, s6
	s_mov_b64 s[8:9], 0
	s_and_not1_b32 vcc_lo, exec_lo, s6
	s_cbranch_vccnz .LBB11_2
; %bb.1:
	s_mul_i32 s6, s20, s13
	s_delay_alu instid0(SALU_CYCLE_1) | instskip(NEXT) | instid1(SALU_CYCLE_1)
	s_mul_i32 s8, s6, s21
	s_ashr_i32 s9, s8, 31
.LBB11_2:
	s_add_co_i32 s6, s19, -1
	s_mul_i32 s14, s7, s13
	s_mul_i32 s10, s6, s7
	v_dual_mov_b32 v0, 0 :: v_dual_mov_b32 v1, s20
	s_sub_co_i32 s10, s22, s10
	s_cmp_lt_u32 s13, s6
	s_mov_b32 s6, 0
	s_cselect_b32 s10, s7, s10
	s_add_co_i32 s7, s22, 63
	s_ashr_i32 s15, s14, 31
	s_ashr_i32 s11, s7, 31
	s_add_nc_u64 s[0:1], s[0:1], s[14:15]
	s_lshr_b32 s11, s11, 26
	s_mov_b32 s14, s23
	s_add_co_i32 s11, s7, s11
	s_mov_b32 s15, s6
	s_add_co_i32 s7, s20, -1
	s_add_co_i32 s16, s21, 15
	s_mul_u64 s[14:15], s[6:7], s[14:15]
	s_ashr_i32 s19, s11, 6
	s_ashr_i32 s25, s15, 31
	;; [unrolled: 1-line block ×3, first 2 shown]
	s_mov_b32 s24, s15
	s_getpc_b64 s[14:15]
	s_sext_i32_i16 s15, s15
	s_add_co_u32 s14, s14, _ZN2ck41GridwiseGemm_xdl_cshuffle_v3_b_preshuffleINS_13tensor_layout4gemm8RowMajorENS2_11ColumnMajorES3_NS_9f8_fnuz_tENS_7pk_i4_tEfDF16_DF16_NS_16tensor_operation12element_wise11PassThroughES9_S9_LNS7_6device18GemmSpecializationE0ELi256ELi256ELi256ELi128ELi16ELi32ELi16ELi16ELi8ELi4ENS_8SequenceIJLi8ELi32ELi1EEEENSC_IJLi1ELi0ELi2EEEESE_Li2ELi16ELi16ELb0ELi0ENSC_IJLi4ELi64ELi1EEEESE_SE_Li2ELi32ELi32ELb0ELi0ELi1ELi1ENSC_IJLi1ELi32ELi1ELi8EEEELi4ELNS_26BlockGemmPipelineSchedulerE0ELNS_24BlockGemmPipelineVersionE2ES5_S5_Lb0ELb0ELi0EE5NWaveE@rel32@lo+8
	s_add_co_ci_u32 s15, s15, _ZN2ck41GridwiseGemm_xdl_cshuffle_v3_b_preshuffleINS_13tensor_layout4gemm8RowMajorENS2_11ColumnMajorES3_NS_9f8_fnuz_tENS_7pk_i4_tEfDF16_DF16_NS_16tensor_operation12element_wise11PassThroughES9_S9_LNS7_6device18GemmSpecializationE0ELi256ELi256ELi256ELi128ELi16ELi32ELi16ELi16ELi8ELi4ENS_8SequenceIJLi8ELi32ELi1EEEENSC_IJLi1ELi0ELi2EEEESE_Li2ELi16ELi16ELb0ELi0ENSC_IJLi4ELi64ELi1EEEESE_SE_Li2ELi32ELi32ELb0ELi0ELi1ELi1ENSC_IJLi1ELi32ELi1ELi8EEEELi4ELNS_26BlockGemmPipelineSchedulerE0ELNS_24BlockGemmPipelineVersionE2ES5_S5_Lb0ELb0ELi0EE5NWaveE@rel32@hi+16
	v_dual_mov_b32 v2, s10 :: v_dual_mov_b32 v3, s23
	s_load_b32 s15, s[14:15], 0x0
	v_mov_b32_e32 v4, 16
	s_add_nc_u64 s[24:25], s[24:25], s[10:11]
	s_mul_i32 s11, s20, s12
	s_ashr_i32 s14, s16, 31
	s_wait_alu 0xfffe
	s_lshl_b32 s11, s11, 4
	s_clause 0x1
	scratch_store_b96 off, v[1:3], off offset:3232
	scratch_store_b32 off, v0, off offset:3244
	v_mov_b32_e32 v3, s12
	s_wait_alu 0xfffe
	v_dual_mov_b32 v5, v4 :: v_dual_mov_b32 v2, s11
	s_lshr_b32 s11, s14, 26
	s_lshl_b32 s14, s19, 10
	s_wait_alu 0xfffe
	s_add_co_i32 s16, s16, s11
	s_lshl_b32 s11, s19, 12
	s_ashr_i32 s16, s16, 6
	s_add_co_i32 s28, s14, 0xfffffc00
	s_add_co_i32 s27, s16, -1
	v_dual_mov_b32 v6, s24 :: v_dual_mov_b32 v7, s25
	s_ashr_i32 s29, s28, 31
	s_wait_kmcnt 0x0
	s_add_co_i32 s22, s15, -1
	s_clause 0x3
	scratch_store_b96 off, v[3:5], off offset:3248
	scratch_store_b8 off, v0, off offset:3260
	scratch_store_b64 off, v[1:2], off offset:3264
	scratch_store_b64 off, v[6:7], off offset:3272
	s_wait_alu 0xfffe
	s_mul_i32 s26, s22, s14
	s_mul_i32 s22, s27, s11
	v_dual_mov_b32 v1, s16 :: v_dual_mov_b32 v2, s15
	s_wait_alu 0xfffe
	s_or_b32 s30, s22, 0x400
	s_mul_i32 s22, s14, s16
	s_ashr_i32 s31, s30, 31
	v_dual_mov_b32 v3, s19 :: v_dual_mov_b32 v4, 0x400
	s_wait_alu 0xfffe
	s_mul_i32 s15, s22, s15
	s_ashr_i32 s27, s26, 31
	s_add_nc_u64 s[28:29], s[30:31], s[28:29]
	s_wait_alu 0xfffe
	v_mov_b32_e32 v5, s15
	s_add_nc_u64 s[26:27], s[28:29], s[26:27]
	scratch_store_b128 off, v[1:4], off offset:3280
	v_dual_mov_b32 v2, s11 :: v_dual_mov_b32 v3, s14
	v_dual_mov_b32 v13, s26 :: v_dual_mov_b32 v6, s1
	;; [unrolled: 1-line block ×5, first 2 shown]
	scratch_store_b32 off, v5, off offset:3312
	v_dual_mov_b32 v5, s0 :: v_dual_mov_b32 v8, s25
	s_cmp_lt_u32 s7, 0x100
	s_clause 0x5
	scratch_store_b96 off, v[2:4], off offset:3296
	scratch_store_b64 off, v[13:14], off offset:3320
	scratch_store_b128 off, v[5:8], off
	scratch_store_b8 off, v0, off offset:16
	scratch_store_b128 off, v[9:12], off offset:24
	scratch_store_b8 off, v0, off offset:40
	s_cbranch_scc1 .LBB11_6
; %bb.3:
	s_add_co_i32 s0, s21, -1
	s_wait_alu 0xfffe
	s_cmp_lt_u32 s0, 0x100
	s_mov_b32 s0, 0
	s_cbranch_scc1 .LBB11_10
; %bb.4:
	s_add_co_i32 s0, s20, 0xff
	s_add_co_i32 s1, s21, 0xff
	s_wait_alu 0xfffe
	s_ashr_i32 s2, s0, 31
	s_ashr_i32 s3, s1, 31
	s_wait_alu 0xfffe
	s_lshr_b32 s2, s2, 24
	s_lshr_b32 s3, s3, 24
	s_wait_alu 0xfffe
	s_add_co_i32 s0, s0, s2
	s_add_co_i32 s2, s1, s3
	s_wait_alu 0xfffe
	s_ashr_i32 s1, s0, 8
	s_ashr_i32 s0, s2, 8
	;; [unrolled: 1-line block ×3, first 2 shown]
	s_wait_alu 0xfffe
	s_mul_i32 s2, s0, s1
	s_wait_alu 0xfffe
	s_add_co_i32 s3, s2, 7
	s_wait_alu 0xfffe
	s_ashr_i32 s15, s3, 31
	s_wait_alu 0xfffe
	s_lshr_b32 s15, s15, 29
	s_wait_alu 0xfffe
	s_add_co_i32 s22, s3, s15
	s_lshr_b32 s3, s16, 29
	s_wait_alu 0xfffe
	s_and_b32 s15, s22, -8
	s_add_co_i32 s19, s17, s3
	s_wait_alu 0xfffe
	s_sub_co_i32 s3, s2, s15
	s_and_b32 s2, s19, -8
	s_wait_alu 0xfffe
	s_add_co_i32 s3, s3, 8
	s_sub_co_i32 s15, s17, s2
	s_ashr_i32 s16, s22, 3
	s_wait_alu 0xfffe
	s_cmp_gt_i32 s15, s3
	s_cbranch_scc1 .LBB11_7
; %bb.5:
	s_mul_i32 s2, s16, s15
	s_ashr_i32 s17, s19, 3
	s_cbranch_execz .LBB11_8
	s_branch .LBB11_9
.LBB11_6:
	s_mov_b32 s26, s6
	s_branch .LBB11_11
.LBB11_7:
                                        ; implicit-def: $sgpr2
	s_ashr_i32 s17, s19, 3
.LBB11_8:
	s_add_co_i32 s2, s16, -1
	s_wait_alu 0xfffe
	s_mul_i32 s2, s2, s15
	s_wait_alu 0xfffe
	s_add_co_i32 s2, s3, s2
.LBB11_9:
	s_abs_i32 s3, s0
	s_wait_alu 0xfffe
	s_add_co_i32 s2, s2, s17
	s_cvt_f32_u32 s15, s3
	s_sub_co_i32 s16, 0, s3
	s_wait_alu 0xfffe
	s_abs_i32 s17, s2
	v_rcp_iflag_f32_e32 v1, s15
	s_delay_alu instid0(TRANS32_DEP_1) | instskip(SKIP_2) | instid1(SALU_CYCLE_2)
	v_readfirstlane_b32 s15, v1
	s_mul_f32 s15, s15, 0x4f7ffffe
	s_wait_alu 0xfffe
	s_cvt_u32_f32 s15, s15
	s_wait_alu 0xfffe
	s_delay_alu instid0(SALU_CYCLE_2)
	s_mul_i32 s16, s16, s15
	s_wait_alu 0xfffe
	s_mul_hi_u32 s16, s15, s16
	s_wait_alu 0xfffe
	s_add_co_i32 s15, s15, s16
	s_xor_b32 s16, s2, s0
	s_wait_alu 0xfffe
	s_mul_hi_u32 s15, s17, s15
	s_ashr_i32 s16, s16, 31
	s_wait_alu 0xfffe
	s_mul_i32 s19, s15, s3
	s_wait_alu 0xfffe
	s_sub_co_i32 s17, s17, s19
	s_add_co_i32 s19, s15, 1
	s_wait_alu 0xfffe
	s_sub_co_i32 s22, s17, s3
	s_cmp_ge_u32 s17, s3
	s_cselect_b32 s15, s19, s15
	s_wait_alu 0xfffe
	s_cselect_b32 s17, s22, s17
	s_add_co_i32 s19, s15, 1
	s_wait_alu 0xfffe
	s_cmp_ge_u32 s17, s3
	s_cselect_b32 s3, s19, s15
	s_lshr_b32 s15, s1, 30
	s_wait_alu 0xfffe
	s_xor_b32 s3, s3, s16
	s_add_co_i32 s15, s1, s15
	s_wait_alu 0xfffe
	s_sub_co_i32 s3, s3, s16
	s_and_b32 s15, s15, -4
	s_wait_alu 0xfffe
	s_mul_i32 s16, s3, s0
	s_sub_co_i32 s1, s1, s15
	s_wait_alu 0xfffe
	s_sub_co_i32 s2, s2, s16
	s_cmp_ge_i32 s3, s15
	s_cselect_b32 s1, s1, 4
	s_ashr_i32 s17, s3, 31
	s_wait_alu 0xfffe
	s_abs_i32 s15, s1
	s_lshr_b32 s17, s17, 30
	s_wait_alu 0xfffe
	s_cvt_f32_u32 s16, s15
	s_add_co_i32 s17, s3, s17
	s_sub_co_i32 s19, 0, s15
	s_wait_alu 0xfffe
	s_and_b32 s17, s17, -4
	v_rcp_iflag_f32_e32 v1, s16
	s_wait_alu 0xfffe
	s_sub_co_i32 s17, s3, s17
	s_wait_alu 0xfffe
	s_mul_i32 s0, s17, s0
	s_wait_alu 0xfffe
	s_add_co_i32 s2, s0, s2
	s_delay_alu instid0(TRANS32_DEP_1) | instskip(SKIP_2) | instid1(SALU_CYCLE_2)
	v_readfirstlane_b32 s16, v1
	s_mul_f32 s16, s16, 0x4f7ffffe
	s_wait_alu 0xfffe
	s_cvt_u32_f32 s16, s16
	s_wait_alu 0xfffe
	s_delay_alu instid0(SALU_CYCLE_2)
	s_mul_i32 s19, s19, s16
	s_wait_alu 0xfffe
	s_mul_hi_u32 s0, s16, s19
	s_abs_i32 s19, s2
	s_wait_alu 0xfffe
	s_add_co_i32 s16, s16, s0
	s_wait_alu 0xfffe
	s_mul_hi_u32 s0, s19, s16
	s_xor_b32 s16, s2, s1
	s_wait_alu 0xfffe
	s_mul_i32 s22, s0, s15
	s_ashr_i32 s16, s16, 31
	s_wait_alu 0xfffe
	s_sub_co_i32 s19, s19, s22
	s_add_co_i32 s22, s0, 1
	s_wait_alu 0xfffe
	s_sub_co_i32 s24, s19, s15
	s_cmp_ge_u32 s19, s15
	s_cselect_b32 s0, s22, s0
	s_wait_alu 0xfffe
	s_cselect_b32 s19, s24, s19
	s_add_co_i32 s22, s0, 1
	s_wait_alu 0xfffe
	s_cmp_ge_u32 s19, s15
	s_cselect_b32 s0, s22, s0
	s_wait_alu 0xfffe
	s_xor_b32 s0, s0, s16
	s_wait_alu 0xfffe
	s_sub_co_i32 s0, s0, s16
	s_wait_alu 0xfffe
	s_mul_i32 s1, s0, s1
	s_wait_alu 0xfffe
	s_sub_co_i32 s1, s2, s1
	s_wait_alu 0xfffe
	s_add_co_i32 s1, s1, s3
	s_wait_alu 0xfffe
	s_sub_co_i32 s17, s1, s17
.LBB11_10:
	s_wait_alu 0xfffe
	s_mov_b32 s26, s17
	s_mov_b32 s17, s0
.LBB11_11:
	v_and_b32_e32 v7, 7, v41
	s_mov_b64 s[0:1], src_shared_base
	s_add_co_i32 s0, s10, 63
	v_dual_mov_b32 v16, v0 :: v_dual_and_b32 v15, 0xf8, v41
	s_delay_alu instid0(VALU_DEP_2)
	v_dual_mov_b32 v3, v7 :: v_dual_lshlrev_b32 v6, 4, v7
	s_wait_alu 0xfffe
	s_ashr_i32 s2, s0, 31
	s_mov_b32 s28, s6
	s_wait_alu 0xfffe
	s_lshr_b32 s2, s2, 26
	s_mov_b32 s29, s6
	s_mov_b32 s30, s6
	;; [unrolled: 1-line block ×3, first 2 shown]
	v_dual_mov_b32 v11, s28 :: v_dual_mov_b32 v12, s29
	v_bfe_u32 v10, v41, 5, 2
	s_wait_alu 0xfffe
	s_add_co_i32 s0, s0, s2
	v_dual_mov_b32 v13, s30 :: v_dual_mov_b32 v14, s31
	v_lshl_or_b32 v1, s26, 8, v15
	v_lshl_or_b32 v2, v15, 7, v6
	s_wait_alu 0xfffe
	s_ashr_i32 s0, s0, 6
	s_lshl_b32 s10, s17, 2
	s_getpc_b64 s[2:3]
	s_wait_alu 0xfffe
	s_sext_i32_i16 s3, s3
	s_add_co_u32 s2, s2, __const._ZN2ck41GridwiseGemm_xdl_cshuffle_v3_b_preshuffleINS_13tensor_layout4gemm8RowMajorENS2_11ColumnMajorES3_NS_9f8_fnuz_tENS_7pk_i4_tEfDF16_DF16_NS_16tensor_operation12element_wise11PassThroughES9_S9_LNS7_6device18GemmSpecializationE0ELi256ELi256ELi256ELi128ELi16ELi32ELi16ELi16ELi8ELi4ENS_8SequenceIJLi8ELi32ELi1EEEENSC_IJLi1ELi0ELi2EEEESE_Li2ELi16ELi16ELb0ELi0ENSC_IJLi4ELi64ELi1EEEESE_SE_Li2ELi32ELi32ELb0ELi0ELi1ELi1ENSC_IJLi1ELi32ELi1ELi8EEEELi4ELNS_26BlockGemmPipelineSchedulerE0ELNS_24BlockGemmPipelineVersionE2ES5_S5_Lb0ELb0ELi0EE8Run_2LdsIKNS_16TensorDescriptorINS_5TupleIJNS_5EmbedINSM_IJiiEEENSM_IJiNS_17integral_constantIiLi1EEEEEELb0EEENS_7UnMergeISO_Lb0EEENS_11PassThroughIiEEEEENSM_IJNSC_IJLi0EEEENSC_IJLi2EEEENSC_IJLi1EEEEEEENSM_IJNSC_IJLi1ELi2EEEENSC_IJLi3ELi4EEEENSC_IJLi5EEEEEEENSC_IJLi3ELi5ELi4EEEElEEKNSL_INSM_IJNSN_INSM_IJiiiiEEENSM_IJiiiSQ_EEELb0EEEEEENSM_IJSY_EEENSM_IJNSC_IJLi1ELi2ELi3ELi4EEEEEEES1E_lEEKNSL_INSM_IJSS_NS_8RightPadIiiLb0EEES1J_NST_INSM_IJiNSP_IiLi256EEEEEELb0EEES1M_EEENSM_IJSY_S10_SZ_NSC_IJLi3EEEENSC_IJLi4EEEEEEENSM_IJS12_S1O_S1P_NSC_IJLi5ELi6EEEENSC_IJLi7ELi8EEEEEEENSC_IJLi5ELi6ELi7ELi8EEEElEELb1ELNS_25InMemoryDataOperationEnumE0ELNS_10TailNumberE1EEEvPKS5_PKS6_PDF16_PvS24_RKNSJ_7ProblemERKT_RKT0_RKT1_i.a_block_slice_copy_step@rel32@lo+12
	s_wait_alu 0xfffe
	s_add_co_ci_u32 s3, s3, __const._ZN2ck41GridwiseGemm_xdl_cshuffle_v3_b_preshuffleINS_13tensor_layout4gemm8RowMajorENS2_11ColumnMajorES3_NS_9f8_fnuz_tENS_7pk_i4_tEfDF16_DF16_NS_16tensor_operation12element_wise11PassThroughES9_S9_LNS7_6device18GemmSpecializationE0ELi256ELi256ELi256ELi128ELi16ELi32ELi16ELi16ELi8ELi4ENS_8SequenceIJLi8ELi32ELi1EEEENSC_IJLi1ELi0ELi2EEEESE_Li2ELi16ELi16ELb0ELi0ENSC_IJLi4ELi64ELi1EEEESE_SE_Li2ELi32ELi32ELb0ELi0ELi1ELi1ENSC_IJLi1ELi32ELi1ELi8EEEELi4ELNS_26BlockGemmPipelineSchedulerE0ELNS_24BlockGemmPipelineVersionE2ES5_S5_Lb0ELb0ELi0EE8Run_2LdsIKNS_16TensorDescriptorINS_5TupleIJNS_5EmbedINSM_IJiiEEENSM_IJiNS_17integral_constantIiLi1EEEEEELb0EEENS_7UnMergeISO_Lb0EEENS_11PassThroughIiEEEEENSM_IJNSC_IJLi0EEEENSC_IJLi2EEEENSC_IJLi1EEEEEEENSM_IJNSC_IJLi1ELi2EEEENSC_IJLi3ELi4EEEENSC_IJLi5EEEEEEENSC_IJLi3ELi5ELi4EEEElEEKNSL_INSM_IJNSN_INSM_IJiiiiEEENSM_IJiiiSQ_EEELb0EEEEEENSM_IJSY_EEENSM_IJNSC_IJLi1ELi2ELi3ELi4EEEEEEES1E_lEEKNSL_INSM_IJSS_NS_8RightPadIiiLb0EEES1J_NST_INSM_IJiNSP_IiLi256EEEEEELb0EEES1M_EEENSM_IJSY_S10_SZ_NSC_IJLi3EEEENSC_IJLi4EEEEEEENSM_IJS12_S1O_S1P_NSC_IJLi5ELi6EEEENSC_IJLi7ELi8EEEEEEENSC_IJLi5ELi6ELi7ELi8EEEElEELb1ELNS_25InMemoryDataOperationEnumE0ELNS_10TailNumberE1EEEvPKS5_PKS6_PDF16_PvS24_RKNSJ_7ProblemERKT_RKT0_RKT1_i.a_block_slice_copy_step@rel32@hi+24
	v_mul_lo_u32 v9, s14, v10
	s_getpc_b64 s[14:15]
	s_wait_alu 0xfffe
	s_sext_i32_i16 s15, s15
	s_add_co_u32 s14, s14, __const._ZN2ck41GridwiseGemm_xdl_cshuffle_v3_b_preshuffleINS_13tensor_layout4gemm8RowMajorENS2_11ColumnMajorES3_NS_9f8_fnuz_tENS_7pk_i4_tEfDF16_DF16_NS_16tensor_operation12element_wise11PassThroughES9_S9_LNS7_6device18GemmSpecializationE0ELi256ELi256ELi256ELi128ELi16ELi32ELi16ELi16ELi8ELi4ENS_8SequenceIJLi8ELi32ELi1EEEENSC_IJLi1ELi0ELi2EEEESE_Li2ELi16ELi16ELb0ELi0ENSC_IJLi4ELi64ELi1EEEESE_SE_Li2ELi32ELi32ELb0ELi0ELi1ELi1ENSC_IJLi1ELi32ELi1ELi8EEEELi4ELNS_26BlockGemmPipelineSchedulerE0ELNS_24BlockGemmPipelineVersionE2ES5_S5_Lb0ELb0ELi0EE8Run_2LdsIKNS_16TensorDescriptorINS_5TupleIJNS_5EmbedINSM_IJiiEEENSM_IJiNS_17integral_constantIiLi1EEEEEELb0EEENS_7UnMergeISO_Lb0EEENS_11PassThroughIiEEEEENSM_IJNSC_IJLi0EEEENSC_IJLi2EEEENSC_IJLi1EEEEEEENSM_IJNSC_IJLi1ELi2EEEENSC_IJLi3ELi4EEEENSC_IJLi5EEEEEEENSC_IJLi3ELi5ELi4EEEElEEKNSL_INSM_IJNSN_INSM_IJiiiiEEENSM_IJiiiSQ_EEELb0EEEEEENSM_IJSY_EEENSM_IJNSC_IJLi1ELi2ELi3ELi4EEEEEEES1E_lEEKNSL_INSM_IJSS_NS_8RightPadIiiLb0EEES1J_NST_INSM_IJiNSP_IiLi256EEEEEELb0EEES1M_EEENSM_IJSY_S10_SZ_NSC_IJLi3EEEENSC_IJLi4EEEEEEENSM_IJS12_S1O_S1P_NSC_IJLi5ELi6EEEENSC_IJLi7ELi8EEEEEEENSC_IJLi5ELi6ELi7ELi8EEEElEELb1ELNS_25InMemoryDataOperationEnumE0ELNS_10TailNumberE1EEEvPKS5_PKS6_PDF16_PvS24_RKNSJ_7ProblemERKT_RKT0_RKT1_i.b_block_slice_copy_step@rel32@lo+12
	s_wait_alu 0xfffe
	s_add_co_ci_u32 s15, s15, __const._ZN2ck41GridwiseGemm_xdl_cshuffle_v3_b_preshuffleINS_13tensor_layout4gemm8RowMajorENS2_11ColumnMajorES3_NS_9f8_fnuz_tENS_7pk_i4_tEfDF16_DF16_NS_16tensor_operation12element_wise11PassThroughES9_S9_LNS7_6device18GemmSpecializationE0ELi256ELi256ELi256ELi128ELi16ELi32ELi16ELi16ELi8ELi4ENS_8SequenceIJLi8ELi32ELi1EEEENSC_IJLi1ELi0ELi2EEEESE_Li2ELi16ELi16ELb0ELi0ENSC_IJLi4ELi64ELi1EEEESE_SE_Li2ELi32ELi32ELb0ELi0ELi1ELi1ENSC_IJLi1ELi32ELi1ELi8EEEELi4ELNS_26BlockGemmPipelineSchedulerE0ELNS_24BlockGemmPipelineVersionE2ES5_S5_Lb0ELb0ELi0EE8Run_2LdsIKNS_16TensorDescriptorINS_5TupleIJNS_5EmbedINSM_IJiiEEENSM_IJiNS_17integral_constantIiLi1EEEEEELb0EEENS_7UnMergeISO_Lb0EEENS_11PassThroughIiEEEEENSM_IJNSC_IJLi0EEEENSC_IJLi2EEEENSC_IJLi1EEEEEEENSM_IJNSC_IJLi1ELi2EEEENSC_IJLi3ELi4EEEENSC_IJLi5EEEEEEENSC_IJLi3ELi5ELi4EEEElEEKNSL_INSM_IJNSN_INSM_IJiiiiEEENSM_IJiiiSQ_EEELb0EEEEEENSM_IJSY_EEENSM_IJNSC_IJLi1ELi2ELi3ELi4EEEEEEES1E_lEEKNSL_INSM_IJSS_NS_8RightPadIiiLb0EEES1J_NST_INSM_IJiNSP_IiLi256EEEEEELb0EEES1M_EEENSM_IJSY_S10_SZ_NSC_IJLi3EEEENSC_IJLi4EEEEEEENSM_IJS12_S1O_S1P_NSC_IJLi5ELi6EEEENSC_IJLi7ELi8EEEEEEENSC_IJLi5ELi6ELi7ELi8EEEElEELb1ELNS_25InMemoryDataOperationEnumE0ELNS_10TailNumberE1EEEvPKS5_PKS6_PDF16_PvS24_RKNSJ_7ProblemERKT_RKT0_RKT1_i.b_block_slice_copy_step@rel32@hi+24
	s_clause 0x1f
	scratch_store_b128 off, v[11:14], off offset:160
	scratch_store_b128 off, v[11:14], off offset:144
	;; [unrolled: 1-line block ×8, first 2 shown]
	scratch_store_b16 off, v0, off offset:176
	scratch_store_b128 off, v[11:14], off offset:192
	scratch_store_b128 off, v[11:14], off offset:208
	;; [unrolled: 1-line block ×7, first 2 shown]
	scratch_store_b16 off, v0, off offset:320
	scratch_store_b128 off, v[11:14], off offset:304
	scratch_store_b128 off, v[11:14], off offset:448
	;; [unrolled: 1-line block ×9, first 2 shown]
	scratch_store_b8 off, v0, off offset:464
	scratch_store_b128 off, v[11:14], off offset:466
	scratch_store_b128 off, v[11:14], off offset:482
	;; [unrolled: 1-line block ×5, first 2 shown]
	s_clause 0xc
	scratch_store_b128 off, v[11:14], off offset:546
	scratch_store_b128 off, v[11:14], off offset:562
	;; [unrolled: 1-line block ×3, first 2 shown]
	scratch_store_b8 off, v0, off offset:594
	scratch_store_b128 off, v[11:14], off offset:720
	scratch_store_b128 off, v[11:14], off offset:704
	;; [unrolled: 1-line block ×9, first 2 shown]
	s_load_b64 s[2:3], s[2:3], 0x0
	s_load_b128 s[28:31], s[14:15], 0x0
	v_dual_mov_b32 v17, v15 :: v_dual_lshlrev_b32 v8, 5, v41
	v_mov_b32_e32 v2, s6
	v_mad_co_u64_u32 v[4:5], null, v1, s23, v[6:7]
	v_dual_mov_b32 v5, v1 :: v_dual_mov_b32 v18, v7
	s_delay_alu instid0(VALU_DEP_4)
	v_and_b32_e32 v19, 0x3e0, v8
	v_mov_b32_e32 v1, v7
	v_mov_b32_e32 v3, v15
	s_mul_i32 s0, s0, s13
	s_mul_i32 s11, s10, s11
	v_or_b32_e32 v8, v9, v19
	s_wait_alu 0xfffe
	s_lshl_b32 s13, s0, 10
	scratch_store_b128 off, v[0:3], off offset:800
	v_dual_mov_b32 v2, v15 :: v_dual_mov_b32 v3, s6
	s_wait_alu 0xfffe
	v_add3_u32 v8, s11, s13, v8
	v_mov_b32_e32 v9, s10
	v_mov_b32_e32 v11, s0
	s_clause 0x2
	scratch_store_b16 off, v0, off offset:736
	scratch_store_b128 off, v[4:7], off offset:752
	scratch_store_b128 off, v[0:3], off offset:816
	s_wait_kmcnt 0x0
	v_dual_mov_b32 v2, s28 :: v_dual_mov_b32 v1, s1
	v_dual_mov_b32 v3, s29 :: v_dual_mov_b32 v4, s30
	v_mov_b32_e32 v5, s31
	s_clause 0x2
	scratch_store_b128 off, v[15:18], off offset:784
	scratch_store_b128 off, v[8:11], off offset:848
	scratch_store_b32 off, v19, off offset:864
	v_dual_mov_b32 v8, 0x8000 :: v_dual_mov_b32 v9, s1
	s_mov_b32 s0, s6
	v_dual_mov_b32 v12, s3 :: v_dual_mov_b32 v11, s2
	s_clause 0x6
	scratch_store_b64 off, v[0:1], off offset:872
	scratch_store_b8 off, v0, off offset:881
	scratch_store_b64 off, v[8:9], off offset:888
	scratch_store_b8 off, v0, off offset:897
	scratch_store_b32 off, v0, off offset:912
	scratch_store_b64 off, v[11:12], off offset:904
	scratch_store_b128 off, v[2:5], off offset:916
.LBB11_12:                              ; =>This Inner Loop Header: Depth=1
	s_wait_alu 0xfffe
	s_add_co_i32 s1, s0, 0x3c0
	s_add_co_i32 s0, s0, 1
	scratch_store_b8 off, v0, s1
	s_wait_alu 0xfffe
	s_cmp_lt_u32 s0, 0x4e0
	s_cbranch_scc1 .LBB11_12
; %bb.13:
	v_and_b32_e32 v43, 15, v41
	v_lshlrev_b32_e32 v0, 2, v41
	v_lshrrev_b32_e32 v42, 7, v41
	v_bfe_u32 v12, v41, 4, 1
	s_lshl_b64 s[2:3], s[8:9], 1
	v_mov_b32_e32 v1, v43
	v_dual_mov_b32 v0, v10 :: v_dual_and_b32 v11, 64, v0
	v_lshl_or_b32 v6, v42, 4, v43
	s_mov_b32 s19, 0
	s_wait_alu 0xfffe
	s_add_nc_u64 s[24:25], s[4:5], s[2:3]
	v_lshrrev_b32_e32 v8, 4, v11
	s_mul_u64 s[22:23], s[6:7], s[18:19]
	s_mov_b32 s4, s19
	s_mov_b32 s5, s19
	;; [unrolled: 1-line block ×4, first 2 shown]
	v_lshlrev_b32_e32 v9, 1, v12
	v_lshlrev_b32_e32 v2, 7, v6
	v_xor_b32_e32 v5, v8, v7
	v_lshl_or_b32 v10, v10, 4, v43
	v_lshrrev_b32_e32 v45, 1, v11
	v_xor_b32_e32 v3, v9, v7
	v_mov_b32_e32 v7, v6
	v_lshl_or_b32 v4, v5, 4, v2
	s_mov_b64 s[0:1], src_private_base
	s_ashr_i32 s0, s12, 31
	v_lshl_or_b32 v2, v3, 4, v2
	v_add_lshl_u32 v44, v10, v45, 6
	scratch_store_b96 off, v[4:6], off offset:1984
	v_dual_mov_b32 v5, v8 :: v_dual_lshlrev_b32 v4, 5, v12
	s_clause 0x9
	scratch_store_b64 off, v[7:8], off offset:2000
	scratch_store_b32 off, v8, off offset:2012
	scratch_store_b32 off, v6, off offset:2020
	scratch_store_b64 off, v[5:6], off offset:2028
	scratch_store_b32 off, v11, off offset:2040
	scratch_store_b128 off, v[42:45], off offset:2048
	scratch_store_b32 off, v10, off offset:2064
	scratch_store_b32 off, v11, off offset:2076
	scratch_store_b128 off, v[0:3], off offset:2084
	scratch_store_b32 off, v6, off offset:2100
	v_mov_b32_e32 v0, s4
	s_wait_alu 0xfffe
	s_lshr_b32 s0, s0, 29
	v_dual_mov_b32 v8, v6 :: v_dual_mov_b32 v5, v9
	v_dual_mov_b32 v2, s6 :: v_dual_mov_b32 v1, s5
	v_mov_b32_e32 v3, s7
	s_wait_alu 0xfffe
	s_add_co_i32 s12, s12, s0
	s_clause 0x3
	scratch_store_b64 off, v[8:9], off offset:2108
	scratch_store_b32 off, v9, off offset:2120
	scratch_store_b32 off, v6, off offset:2128
	scratch_store_b64 off, v[5:6], off offset:2136
	s_wait_alu 0xfffe
	s_ashr_i32 s0, s12, 3
	s_clause 0x1f
	scratch_store_b32 off, v4, off offset:2148
	scratch_store_b64 off, v[42:43], off offset:2156
	scratch_store_b64 off, v[42:43], off offset:2168
	scratch_store_b32 off, v12, off offset:2180
	scratch_store_b128 off, v[0:3], off offset:3216
	scratch_store_b128 off, v[0:3], off offset:3200
	;; [unrolled: 1-line block ×28, first 2 shown]
	s_clause 0x1f
	scratch_store_b128 off, v[0:3], off offset:2768
	scratch_store_b128 off, v[0:3], off offset:2752
	scratch_store_b128 off, v[0:3], off offset:2736
	scratch_store_b128 off, v[0:3], off offset:2720
	scratch_store_b128 off, v[0:3], off offset:2704
	scratch_store_b128 off, v[0:3], off offset:2688
	scratch_store_b128 off, v[0:3], off offset:2672
	scratch_store_b128 off, v[0:3], off offset:2656
	scratch_store_b128 off, v[0:3], off offset:2640
	scratch_store_b128 off, v[0:3], off offset:2624
	scratch_store_b128 off, v[0:3], off offset:2608
	scratch_store_b128 off, v[0:3], off offset:2592
	scratch_store_b128 off, v[0:3], off offset:2576
	scratch_store_b128 off, v[0:3], off offset:2560
	scratch_store_b128 off, v[0:3], off offset:2544
	scratch_store_b128 off, v[0:3], off offset:2528
	scratch_store_b128 off, v[0:3], off offset:2512
	scratch_store_b128 off, v[0:3], off offset:2496
	scratch_store_b128 off, v[0:3], off offset:2480
	scratch_store_b128 off, v[0:3], off offset:2464
	scratch_store_b128 off, v[0:3], off offset:2448
	scratch_store_b128 off, v[0:3], off offset:2432
	scratch_store_b128 off, v[0:3], off offset:2416
	scratch_store_b128 off, v[0:3], off offset:2400
	scratch_store_b128 off, v[0:3], off offset:2384
	scratch_store_b128 off, v[0:3], off offset:2368
	scratch_store_b128 off, v[0:3], off offset:2352
	scratch_store_b128 off, v[0:3], off offset:2336
	scratch_store_b128 off, v[0:3], off offset:2320
	scratch_store_b128 off, v[0:3], off offset:2304
	scratch_store_b128 off, v[0:3], off offset:2288
	scratch_store_b128 off, v[0:3], off offset:2272
	s_clause 0x3
	scratch_store_b128 off, v[0:3], off offset:2256
	scratch_store_b128 off, v[0:3], off offset:2240
	;; [unrolled: 1-line block ×4, first 2 shown]
	v_dual_mov_b32 v0, 0x3c0 :: v_dual_mov_b32 v1, s1
	v_mov_b32_e32 v4, 48
	v_dual_mov_b32 v2, 0xca0 :: v_dual_mov_b32 v3, s1
	v_dual_mov_b32 v6, 0 :: v_dual_mov_b32 v5, s1
	;; [unrolled: 1-line block ×9, first 2 shown]
	s_wait_alu 0xfffe
	v_dual_mov_b32 v22, s0 :: v_dual_mov_b32 v21, s1
	s_getpc_b64 s[2:3]
	s_wait_alu 0xfffe
	s_sext_i32_i16 s3, s3
	s_add_co_u32 s2, s2, _ZNK2ck52BlockwiseGemmXdlops_pipeline_bpreshuffle_bdequant_v3ILNS_26BlockGemmPipelineSchedulerE0ELi256ENS_9f8_fnuz_tENS_7pk_i4_tES2_fNS_16TensorDescriptorINS_5TupleIJNS_5EmbedINS5_IJNS_17integral_constantIiLi8EEENS7_IiLi256EEENS7_IiLi16EEEEEENS5_IJSA_NS7_IiLi128EEENS7_IiLi1EEEEEELb0EEENS_3XorINS5_IJS9_S8_EEELb1EEENS_11PassThroughISA_EENS_7UnMergeINS5_IJS8_SD_EEELb0EEENSJ_IS9_EESK_NSJ_IS8_EENS_21Merge_v3_division_modINS5_IJS9_SD_EEEEESK_EEENS5_IJNS_8SequenceIJLi0EEEENSU_IJLi2ELi1EEEENSU_IJLi3EEEENSU_IJLi5EEEENSU_IJLi4EEEENSU_IJLi6EEEENSU_IJLi7EEEENSU_IJLi9ELi8EEEENSU_IJLi10EEEEEEENS5_IJNSU_IJLi1ELi2ELi3EEEENSU_IJLi4ELi5EEEES10_NSU_IJLi7ELi8EEEENSU_IJLi9EEEES13_NSU_IJLi11EEEENSU_IJLi12EEEENSU_IJLi13EEEEEEENSU_IJLi11ELi12ELi13EEEENS7_IlLl32768EEEEENS4_INS5_IJNSL_INS5_IJNS7_IiLi4EEESD_NS7_IiLi2EEENS7_IiLi32EEEEEELb0EEEEEENS5_IJSV_EEENS5_IJNSU_IJLi1ELi2ELi3ELi4EEEEEEES1N_NS7_IlLl256EEEEENS4_INS5_IJSF_SI_SK_SN_SO_SK_SP_SS_SK_NSQ_INS5_IJS8_SA_EEEEENSL_INS5_IJS8_S1H_SA_EEELb0EEEEEENS5_IJSV_SW_SX_SY_SZ_S10_S11_S12_S13_NSU_IJLi11ELi13EEEES1A_EEENS5_IJS15_S16_S10_S17_S18_S13_S19_S1A_S1B_NSU_IJLi14EEEENSU_IJLi15ELi16ELi17EEEEEEENSU_IJLi15ELi16ELi17ELi14EEEES1E_EENS4_INS5_IJS1K_NSQ_INS5_IJS1G_S1H_EEEEENSL_INS5_IJS1G_S1G_SA_EEELb0EEEEEENS5_IJSV_NSU_IJLi1ELi3EEEENSU_IJLi2EEEEEEENS5_IJS1N_SY_NSU_IJLi6ELi7ELi8EEEEEEENSU_IJLi6ELi7ELi8ELi5EEEES1P_EELi16ELi32ELi256ELi256ELi128ELi16ELi16ELi8ELi4ELi32ELb0EE3RunILb1ELNS_10TailNumberE1ENS4_INS5_IJNS6_INS5_IJiiEEENS5_IJiSD_EEELb0EEENSL_IS2I_Lb0EEENSJ_IiEEEEENS5_IJSV_S29_NSU_IJLi1EEEEEEENS5_IJNSU_IJLi1ELi2EEEENSU_IJLi3ELi4EEEESY_EEENSU_IJLi3ELi5ELi4EEEElEES1F_NS_35ThreadGroupTensorSliceTransfer_v4r1INS_15ThisThreadBlockILi256EEENS_16tensor_operation12element_wise11PassThroughES30_LNS_25InMemoryDataOperationEnumE0ENSU_IJLi8ELi256ELi16EEEENSU_IJLi8ELi32ELi1EEEENSU_IJLi1ELi0ELi2EEEES2_S2_RKS2U_KS1F_S34_NSU_IJLi0ELi1ELi2EEEELi2ELi2ELi16ELi16ELi1ELi1ELb0ELb1ELi2EiEENS_13DynamicBufferILNS_16AddressSpaceEnumE1EKS2_lLb1ELNS_22AmdBufferCoherenceEnumE0EiEENS5_IJNS3A_ILS3B_2ES2_S1E_Lb1ELS3D_0EiEES3F_EEENS5_IJiiiEEENS4_INS5_IJNS6_INS5_IJiiiiEEENS5_IJiiiSD_EEELb0EEEEEES1M_S1O_S1N_lEENS_32ThreadwiseTensorSliceTransfer_v2IS3_S3_RKS3M_KS1Q_NSU_IJLi4ELi1ELi2ELi32EEEENSU_IJLi1ELi2ELi0ELi3EEEELi3ELi32ELi0ELb1ELb0ELb0EEENS3A_ILS3B_1EKS3_lLb1ELS3D_0EiEENS5_IJNS_12StaticBufferILS3B_4ES3_Li256ELb1EEES3X_EEES3I_NS_25StaticBufferTupleOfVectorILS3B_4EfLi32ELi8ELb1ELb0EEEEEvRKT1_RKT2_RT3_RKT4_RT5_RKT6_RKT7_RT8_RKT9_RT10_RKT11_RT12_i@rel32@lo+12
	s_wait_alu 0xfffe
	s_add_co_ci_u32 s3, s3, _ZNK2ck52BlockwiseGemmXdlops_pipeline_bpreshuffle_bdequant_v3ILNS_26BlockGemmPipelineSchedulerE0ELi256ENS_9f8_fnuz_tENS_7pk_i4_tES2_fNS_16TensorDescriptorINS_5TupleIJNS_5EmbedINS5_IJNS_17integral_constantIiLi8EEENS7_IiLi256EEENS7_IiLi16EEEEEENS5_IJSA_NS7_IiLi128EEENS7_IiLi1EEEEEELb0EEENS_3XorINS5_IJS9_S8_EEELb1EEENS_11PassThroughISA_EENS_7UnMergeINS5_IJS8_SD_EEELb0EEENSJ_IS9_EESK_NSJ_IS8_EENS_21Merge_v3_division_modINS5_IJS9_SD_EEEEESK_EEENS5_IJNS_8SequenceIJLi0EEEENSU_IJLi2ELi1EEEENSU_IJLi3EEEENSU_IJLi5EEEENSU_IJLi4EEEENSU_IJLi6EEEENSU_IJLi7EEEENSU_IJLi9ELi8EEEENSU_IJLi10EEEEEEENS5_IJNSU_IJLi1ELi2ELi3EEEENSU_IJLi4ELi5EEEES10_NSU_IJLi7ELi8EEEENSU_IJLi9EEEES13_NSU_IJLi11EEEENSU_IJLi12EEEENSU_IJLi13EEEEEEENSU_IJLi11ELi12ELi13EEEENS7_IlLl32768EEEEENS4_INS5_IJNSL_INS5_IJNS7_IiLi4EEESD_NS7_IiLi2EEENS7_IiLi32EEEEEELb0EEEEEENS5_IJSV_EEENS5_IJNSU_IJLi1ELi2ELi3ELi4EEEEEEES1N_NS7_IlLl256EEEEENS4_INS5_IJSF_SI_SK_SN_SO_SK_SP_SS_SK_NSQ_INS5_IJS8_SA_EEEEENSL_INS5_IJS8_S1H_SA_EEELb0EEEEEENS5_IJSV_SW_SX_SY_SZ_S10_S11_S12_S13_NSU_IJLi11ELi13EEEES1A_EEENS5_IJS15_S16_S10_S17_S18_S13_S19_S1A_S1B_NSU_IJLi14EEEENSU_IJLi15ELi16ELi17EEEEEEENSU_IJLi15ELi16ELi17ELi14EEEES1E_EENS4_INS5_IJS1K_NSQ_INS5_IJS1G_S1H_EEEEENSL_INS5_IJS1G_S1G_SA_EEELb0EEEEEENS5_IJSV_NSU_IJLi1ELi3EEEENSU_IJLi2EEEEEEENS5_IJS1N_SY_NSU_IJLi6ELi7ELi8EEEEEEENSU_IJLi6ELi7ELi8ELi5EEEES1P_EELi16ELi32ELi256ELi256ELi128ELi16ELi16ELi8ELi4ELi32ELb0EE3RunILb1ELNS_10TailNumberE1ENS4_INS5_IJNS6_INS5_IJiiEEENS5_IJiSD_EEELb0EEENSL_IS2I_Lb0EEENSJ_IiEEEEENS5_IJSV_S29_NSU_IJLi1EEEEEEENS5_IJNSU_IJLi1ELi2EEEENSU_IJLi3ELi4EEEESY_EEENSU_IJLi3ELi5ELi4EEEElEES1F_NS_35ThreadGroupTensorSliceTransfer_v4r1INS_15ThisThreadBlockILi256EEENS_16tensor_operation12element_wise11PassThroughES30_LNS_25InMemoryDataOperationEnumE0ENSU_IJLi8ELi256ELi16EEEENSU_IJLi8ELi32ELi1EEEENSU_IJLi1ELi0ELi2EEEES2_S2_RKS2U_KS1F_S34_NSU_IJLi0ELi1ELi2EEEELi2ELi2ELi16ELi16ELi1ELi1ELb0ELb1ELi2EiEENS_13DynamicBufferILNS_16AddressSpaceEnumE1EKS2_lLb1ELNS_22AmdBufferCoherenceEnumE0EiEENS5_IJNS3A_ILS3B_2ES2_S1E_Lb1ELS3D_0EiEES3F_EEENS5_IJiiiEEENS4_INS5_IJNS6_INS5_IJiiiiEEENS5_IJiiiSD_EEELb0EEEEEES1M_S1O_S1N_lEENS_32ThreadwiseTensorSliceTransfer_v2IS3_S3_RKS3M_KS1Q_NSU_IJLi4ELi1ELi2ELi32EEEENSU_IJLi1ELi2ELi0ELi3EEEELi3ELi32ELi0ELb1ELb0ELb0EEENS3A_ILS3B_1EKS3_lLb1ELS3D_0EiEENS5_IJNS_12StaticBufferILS3B_4ES3_Li256ELb1EEES3X_EEES3I_NS_25StaticBufferTupleOfVectorILS3B_4EfLi32ELi8ELb1ELb0EEEEEvRKT1_RKT2_RT3_RKT4_RT5_RKT6_RKT7_RT8_RKT9_RT10_RKT11_RT12_i@rel32@hi+24
	s_wait_alu 0xfffe
	s_swappc_b64 s[30:31], s[2:3]
	s_wait_dscnt 0x0
	s_barrier_signal -1
	s_barrier_wait -1
	s_clause 0x1
	scratch_load_b128 v[3:6], off, off offset:2208
	scratch_load_b128 v[7:10], off, off offset:2224
	v_lshrrev_b32_e32 v0, 1, v41
	v_lshlrev_b32_e32 v1, 3, v41
	v_lshrrev_b32_e32 v12, 3, v41
	v_and_b32_e32 v13, 0x60, v41
	v_lshlrev_b32_e32 v14, 1, v43
	v_and_b32_e32 v0, 8, v0
	v_and_b32_e32 v1, 56, v1
	v_lshl_or_b32 v2, s26, 8, v12
	s_and_b32 s25, s25, 0xffff
	s_mov_b32 s27, 0x31004000
	v_and_or_b32 v0, v12, 16, v0
	v_lshlrev_b32_e32 v15, 1, v1
	v_lshl_or_b32 v11, s17, 8, v1
	v_cmp_gt_i32_e64 s7, s20, v2
	s_lshl_b32 s9, s18, 5
	v_lshlrev_b32_e32 v1, 7, v0
	v_lshl_or_b32 v0, v12, 7, v15
	v_or_b32_e32 v12, 4, v11
	v_cmp_gt_i32_e64 s0, s21, v11
	v_or_b32_e32 v22, 0x60, v2
	v_or3_b32 v1, v13, v1, v14
	v_or_b32_e32 v13, 64, v11
	v_mad_co_u64_u32 v[15:16], null, v2, s18, v[11:12]
	v_cmp_gt_i32_e32 vcc_lo, s21, v12
	s_and_b32 s1, s7, s0
	v_or_b32_e32 v14, 0x44, v11
	v_cmp_gt_i32_e64 s2, s21, v13
	v_or_b32_e32 v13, 0x80, v11
	v_or_b32_e32 v16, 64, v2
	v_lshlrev_b32_e32 v12, 1, v15
	s_and_b32 s3, s7, s2
	s_delay_alu instid0(VALU_DEP_3) | instskip(SKIP_2) | instid1(VALU_DEP_1)
	v_cmp_gt_i32_e64 s4, s21, v13
	v_or_b32_e32 v13, 0xc0, v11
	s_and_b32 s5, s7, s4
	v_cmp_gt_i32_e64 s6, s21, v13
	s_and_b32 s8, s7, s6
	s_wait_loadcnt 0x1
	v_cvt_f16_f32_e32 v3, v3
	v_cvt_f16_f32_e32 v4, v4
	;; [unrolled: 1-line block ×4, first 2 shown]
	s_wait_loadcnt 0x0
	v_cvt_f16_f32_e32 v7, v7
	v_cvt_f16_f32_e32 v8, v8
	;; [unrolled: 1-line block ×4, first 2 shown]
	ds_store_b16 v1, v3
	ds_store_b16 v1, v4 offset:128
	ds_store_b16 v1, v5 offset:256
	;; [unrolled: 1-line block ×7, first 2 shown]
	s_wait_dscnt 0x0
	s_barrier_signal -1
	s_barrier_wait -1
	ds_load_b128 v[3:6], v0
	s_wait_alu 0xfffe
	v_cndmask_b32_e64 v7, 0x80000000, 0, s1
	s_and_b32 s1, s7, vcc_lo
	s_wait_alu 0xfffe
	v_cndmask_b32_e64 v8, 0x80000000, 0, s1
	s_add_co_i32 s1, s21, s23
	v_add_nc_u32_e32 v7, v7, v12
	s_wait_alu 0xfffe
	s_lshl_b32 s26, s1, 1
	v_cmp_gt_i32_e64 s1, s21, v14
	v_add_nc_u32_e32 v8, v12, v8
	s_wait_dscnt 0x0
	s_clause 0x1
	buffer_store_b64 v[3:4], v7, s[24:27], null offen
	buffer_store_b64 v[5:6], v8, s[24:27], null offen offset:8
	s_wait_dscnt 0x0
	s_barrier_signal -1
	s_barrier_wait -1
	s_clause 0x1
	scratch_load_b128 v[3:6], off, off offset:2240
	scratch_load_b128 v[7:10], off, off offset:2256
	v_or_b32_e32 v14, 0x84, v11
	v_or_b32_e32 v11, 0xc4, v11
	s_wait_loadcnt 0x1
	v_cvt_f16_f32_e32 v3, v3
	v_cvt_f16_f32_e32 v4, v4
	;; [unrolled: 1-line block ×4, first 2 shown]
	s_wait_loadcnt 0x0
	v_cvt_f16_f32_e32 v7, v7
	v_cvt_f16_f32_e32 v8, v8
	;; [unrolled: 1-line block ×4, first 2 shown]
	ds_store_b16 v1, v3
	ds_store_b16 v1, v4 offset:128
	ds_store_b16 v1, v5 offset:256
	;; [unrolled: 1-line block ×7, first 2 shown]
	s_wait_dscnt 0x0
	s_barrier_signal -1
	s_barrier_wait -1
	ds_load_b128 v[3:6], v0
	v_cndmask_b32_e64 v7, 0x80000000, 0, s3
	s_and_b32 s3, s7, s1
	s_wait_alu 0xfffe
	v_cndmask_b32_e64 v8, 0x80000000, 0, s3
	v_cmp_gt_i32_e64 s3, s21, v14
	v_add_nc_u32_e32 v7, v12, v7
	s_delay_alu instid0(VALU_DEP_3)
	v_add_nc_u32_e32 v8, v12, v8
	s_wait_dscnt 0x0
	s_clause 0x1
	buffer_store_b64 v[3:4], v7, s[24:27], null offen offset:128
	buffer_store_b64 v[5:6], v8, s[24:27], null offen offset:136
	s_wait_dscnt 0x0
	s_barrier_signal -1
	s_barrier_wait -1
	s_clause 0x1
	scratch_load_b128 v[3:6], off, off offset:2272
	scratch_load_b128 v[7:10], off, off offset:2288
	s_wait_loadcnt 0x1
	v_cvt_f16_f32_e32 v3, v3
	v_cvt_f16_f32_e32 v4, v4
	;; [unrolled: 1-line block ×4, first 2 shown]
	s_wait_loadcnt 0x0
	v_cvt_f16_f32_e32 v7, v7
	v_cvt_f16_f32_e32 v8, v8
	;; [unrolled: 1-line block ×4, first 2 shown]
	ds_store_b16 v1, v3
	ds_store_b16 v1, v4 offset:128
	ds_store_b16 v1, v5 offset:256
	;; [unrolled: 1-line block ×7, first 2 shown]
	s_wait_dscnt 0x0
	s_barrier_signal -1
	s_barrier_wait -1
	ds_load_b128 v[3:6], v0
	v_cndmask_b32_e64 v7, 0x80000000, 0, s5
	s_and_b32 s5, s7, s3
	s_wait_alu 0xfffe
	v_cndmask_b32_e64 v8, 0x80000000, 0, s5
	v_cmp_gt_i32_e64 s5, s21, v11
	v_add_nc_u32_e32 v7, v12, v7
	v_add_nc_u32_e32 v11, 0xc0, v15
	;; [unrolled: 1-line block ×4, first 2 shown]
	s_wait_dscnt 0x0
	s_clause 0x1
	buffer_store_b64 v[3:4], v7, s[24:27], null offen offset:256
	buffer_store_b64 v[5:6], v8, s[24:27], null offen offset:264
	s_wait_dscnt 0x0
	s_barrier_signal -1
	s_barrier_wait -1
	s_clause 0x1
	scratch_load_b128 v[3:6], off, off offset:2304
	scratch_load_b128 v[7:10], off, off offset:2320
	s_and_b32 s7, s7, s5
	v_add_lshl_u32 v13, v11, s9, 1
	v_add_nc_u32_e32 v20, s9, v15
	s_delay_alu instid0(VALU_DEP_1)
	v_lshlrev_b32_e32 v19, 1, v20
	v_add_nc_u32_e32 v21, 0xc0, v20
	v_add_nc_u32_e32 v20, s9, v20
	s_wait_loadcnt 0x1
	v_cvt_f16_f32_e32 v3, v3
	v_cvt_f16_f32_e32 v4, v4
	;; [unrolled: 1-line block ×4, first 2 shown]
	s_wait_loadcnt 0x0
	v_cvt_f16_f32_e32 v7, v7
	v_cvt_f16_f32_e32 v8, v8
	;; [unrolled: 1-line block ×4, first 2 shown]
	ds_store_b16 v1, v3
	ds_store_b16 v1, v4 offset:128
	ds_store_b16 v1, v5 offset:256
	;; [unrolled: 1-line block ×7, first 2 shown]
	s_wait_dscnt 0x0
	s_barrier_signal -1
	s_barrier_wait -1
	ds_load_b128 v[3:6], v0
	v_cndmask_b32_e64 v7, 0x80000000, 0, s8
	s_wait_alu 0xfffe
	v_cndmask_b32_e64 v8, 0x80000000, 0, s7
	s_delay_alu instid0(VALU_DEP_2) | instskip(NEXT) | instid1(VALU_DEP_2)
	v_lshl_add_u32 v7, v11, 1, v7
	v_add_nc_u32_e32 v8, v12, v8
	s_wait_dscnt 0x0
	s_clause 0x1
	buffer_store_b64 v[3:4], v7, s[24:27], null offen
	buffer_store_b64 v[5:6], v8, s[24:27], null offen offset:392
	s_wait_dscnt 0x0
	s_barrier_signal -1
	s_barrier_wait -1
	s_clause 0x1
	scratch_load_b128 v[3:6], off, off offset:2432
	scratch_load_b128 v[7:10], off, off offset:2448
	v_or_b32_e32 v12, 32, v2
	s_delay_alu instid0(VALU_DEP_1)
	v_cmp_gt_i32_e64 s7, s20, v12
	s_and_b32 s8, s7, s6
	s_wait_loadcnt 0x1
	v_cvt_f16_f32_e32 v3, v3
	v_cvt_f16_f32_e32 v4, v4
	;; [unrolled: 1-line block ×4, first 2 shown]
	s_wait_loadcnt 0x0
	v_cvt_f16_f32_e32 v7, v7
	v_cvt_f16_f32_e32 v8, v8
	;; [unrolled: 1-line block ×4, first 2 shown]
	ds_store_b16 v1, v3
	ds_store_b16 v1, v4 offset:128
	ds_store_b16 v1, v5 offset:256
	;; [unrolled: 1-line block ×7, first 2 shown]
	s_wait_dscnt 0x0
	s_barrier_signal -1
	s_barrier_wait -1
	ds_load_b128 v[3:6], v0
	s_wait_alu 0xfffe
	v_cndmask_b32_e64 v7, 0x80000000, 0, s8
	s_and_b32 s8, s7, s5
	s_wait_alu 0xfffe
	v_cndmask_b32_e64 v8, 0x80000008, 8, s8
	s_and_b32 s8, s7, s4
	v_add_nc_u32_e32 v7, v13, v7
	s_delay_alu instid0(VALU_DEP_2)
	v_add_nc_u32_e32 v8, v13, v8
	s_wait_dscnt 0x0
	s_clause 0x1
	buffer_store_b64 v[3:4], v7, s[24:27], null offen
	buffer_store_b64 v[5:6], v8, s[24:27], null offen
	s_wait_dscnt 0x0
	s_barrier_signal -1
	s_barrier_wait -1
	s_clause 0x1
	scratch_load_b128 v[3:6], off, off offset:2400
	scratch_load_b128 v[7:10], off, off offset:2416
	s_wait_loadcnt 0x1
	v_cvt_f16_f32_e32 v3, v3
	v_cvt_f16_f32_e32 v4, v4
	;; [unrolled: 1-line block ×4, first 2 shown]
	s_wait_loadcnt 0x0
	v_cvt_f16_f32_e32 v7, v7
	v_cvt_f16_f32_e32 v8, v8
	;; [unrolled: 1-line block ×4, first 2 shown]
	ds_store_b16 v1, v3
	ds_store_b16 v1, v4 offset:128
	ds_store_b16 v1, v5 offset:256
	;; [unrolled: 1-line block ×7, first 2 shown]
	s_wait_dscnt 0x0
	s_barrier_signal -1
	s_barrier_wait -1
	ds_load_b128 v[5:8], v0
	v_mov_b32_e32 v3, 0xffffff80
	v_mov_b32_e32 v4, 0xffffff88
	s_delay_alu instid0(VALU_DEP_2) | instskip(SKIP_2) | instid1(VALU_DEP_2)
	v_cndmask_b32_e64 v9, 0x7fffff80, v3, s8
	s_and_b32 s8, s7, s3
	s_wait_alu 0xfffe
	v_cndmask_b32_e64 v10, 0x7fffff88, v4, s8
	s_and_b32 s8, s7, s2
	v_add_nc_u32_e32 v9, v13, v9
	s_delay_alu instid0(VALU_DEP_2)
	v_add_nc_u32_e32 v10, v13, v10
	s_wait_dscnt 0x0
	s_clause 0x1
	buffer_store_b64 v[5:6], v9, s[24:27], null offen
	buffer_store_b64 v[7:8], v10, s[24:27], null offen
	s_wait_dscnt 0x0
	s_barrier_signal -1
	s_barrier_wait -1
	s_clause 0x1
	scratch_load_b128 v[5:8], off, off offset:2368
	scratch_load_b128 v[9:12], off, off offset:2384
	s_wait_loadcnt 0x1
	v_cvt_f16_f32_e32 v5, v5
	v_cvt_f16_f32_e32 v6, v6
	;; [unrolled: 1-line block ×4, first 2 shown]
	s_wait_loadcnt 0x0
	v_cvt_f16_f32_e32 v9, v9
	v_cvt_f16_f32_e32 v10, v10
	;; [unrolled: 1-line block ×4, first 2 shown]
	ds_store_b16 v1, v5
	ds_store_b16 v1, v6 offset:128
	ds_store_b16 v1, v7 offset:256
	;; [unrolled: 1-line block ×7, first 2 shown]
	s_wait_dscnt 0x0
	s_barrier_signal -1
	s_barrier_wait -1
	ds_load_b128 v[7:10], v0
	v_mov_b32_e32 v5, 0xffffff00
	v_mov_b32_e32 v6, 0xffffff08
	s_delay_alu instid0(VALU_DEP_2) | instskip(SKIP_2) | instid1(VALU_DEP_2)
	v_cndmask_b32_e64 v11, 0x7fffff00, v5, s8
	s_and_b32 s8, s7, s1
	s_wait_alu 0xfffe
	v_cndmask_b32_e64 v12, 0x7fffff08, v6, s8
	s_and_b32 s8, s0, s7
	v_add_nc_u32_e32 v11, v13, v11
	s_and_b32 s7, s7, vcc_lo
	s_delay_alu instid0(VALU_DEP_2)
	v_add_nc_u32_e32 v12, v13, v12
	s_wait_dscnt 0x0
	s_clause 0x1
	buffer_store_b64 v[7:8], v11, s[24:27], null offen
	buffer_store_b64 v[9:10], v12, s[24:27], null offen
	s_wait_dscnt 0x0
	s_barrier_signal -1
	s_barrier_wait -1
	s_clause 0x1
	scratch_load_b128 v[7:10], off, off offset:2336
	scratch_load_b128 v[11:14], off, off offset:2352
	s_wait_loadcnt 0x1
	v_cvt_f16_f32_e32 v7, v7
	v_cvt_f16_f32_e32 v8, v8
	;; [unrolled: 1-line block ×4, first 2 shown]
	s_wait_loadcnt 0x0
	v_cvt_f16_f32_e32 v11, v11
	v_cvt_f16_f32_e32 v12, v12
	;; [unrolled: 1-line block ×4, first 2 shown]
	ds_store_b16 v1, v7
	ds_store_b16 v1, v8 offset:128
	ds_store_b16 v1, v9 offset:256
	;; [unrolled: 1-line block ×7, first 2 shown]
	s_wait_dscnt 0x0
	s_barrier_signal -1
	s_barrier_wait -1
	ds_load_b128 v[7:10], v0
	v_cndmask_b32_e64 v11, 0x80000000, 0, s8
	v_lshlrev_b32_e32 v12, 1, v15
	v_cndmask_b32_e64 v13, 0x80000000, 0, s7
	v_cmp_gt_i32_e64 s7, s20, v16
	s_delay_alu instid0(VALU_DEP_3) | instskip(NEXT) | instid1(VALU_DEP_3)
	v_add_nc_u32_e32 v11, v11, v12
	v_add_nc_u32_e32 v12, v12, v13
	s_wait_dscnt 0x0
	s_clause 0x1
	buffer_store_b64 v[7:8], v11, s[24:27], null offen
	buffer_store_b64 v[9:10], v12, s[24:27], null offen offset:8
	s_wait_dscnt 0x0
	s_barrier_signal -1
	s_barrier_wait -1
	s_clause 0x1
	scratch_load_b128 v[7:10], off, off offset:2464
	scratch_load_b128 v[11:14], off, off offset:2480
	s_and_b32 s8, s0, s7
	s_wait_loadcnt 0x1
	v_cvt_f16_f32_e32 v7, v7
	v_cvt_f16_f32_e32 v8, v8
	;; [unrolled: 1-line block ×4, first 2 shown]
	s_wait_loadcnt 0x0
	v_cvt_f16_f32_e32 v11, v11
	v_cvt_f16_f32_e32 v12, v12
	;; [unrolled: 1-line block ×4, first 2 shown]
	ds_store_b16 v1, v7
	ds_store_b16 v1, v8 offset:128
	ds_store_b16 v1, v9 offset:256
	;; [unrolled: 1-line block ×7, first 2 shown]
	s_wait_dscnt 0x0
	s_barrier_signal -1
	s_barrier_wait -1
	ds_load_b128 v[7:10], v0
	s_wait_alu 0xfffe
	v_cndmask_b32_e64 v11, 0x80000000, 0, s8
	s_and_b32 s8, s7, vcc_lo
	s_wait_alu 0xfffe
	v_cndmask_b32_e64 v12, 0x80000008, 8, s8
	s_and_b32 s8, s7, s2
	v_add_nc_u32_e32 v11, v19, v11
	s_delay_alu instid0(VALU_DEP_2)
	v_add_nc_u32_e32 v12, v19, v12
	s_wait_dscnt 0x0
	s_clause 0x1
	buffer_store_b64 v[7:8], v11, s[24:27], null offen
	buffer_store_b64 v[9:10], v12, s[24:27], null offen
	s_wait_dscnt 0x0
	s_barrier_signal -1
	s_barrier_wait -1
	s_clause 0x1
	scratch_load_b128 v[7:10], off, off offset:2496
	scratch_load_b128 v[11:14], off, off offset:2512
	s_wait_loadcnt 0x1
	v_cvt_f16_f32_e32 v7, v7
	v_cvt_f16_f32_e32 v8, v8
	;; [unrolled: 1-line block ×4, first 2 shown]
	s_wait_loadcnt 0x0
	v_cvt_f16_f32_e32 v11, v11
	v_cvt_f16_f32_e32 v12, v12
	;; [unrolled: 1-line block ×4, first 2 shown]
	ds_store_b16 v1, v7
	ds_store_b16 v1, v8 offset:128
	ds_store_b16 v1, v9 offset:256
	;; [unrolled: 1-line block ×7, first 2 shown]
	s_wait_dscnt 0x0
	s_barrier_signal -1
	s_barrier_wait -1
	ds_load_b128 v[9:12], v0
	v_mov_b32_e32 v7, 0x80
	v_mov_b32_e32 v8, 0x88
	s_delay_alu instid0(VALU_DEP_2) | instskip(SKIP_2) | instid1(VALU_DEP_2)
	v_cndmask_b32_e64 v13, 0x80000080, v7, s8
	s_and_b32 s8, s7, s1
	s_wait_alu 0xfffe
	v_cndmask_b32_e64 v14, 0x80000088, v8, s8
	s_and_b32 s8, s7, s4
	v_add_nc_u32_e32 v13, v19, v13
	s_delay_alu instid0(VALU_DEP_2)
	v_add_nc_u32_e32 v14, v19, v14
	s_wait_dscnt 0x0
	s_clause 0x1
	buffer_store_b64 v[9:10], v13, s[24:27], null offen
	buffer_store_b64 v[11:12], v14, s[24:27], null offen
	s_wait_dscnt 0x0
	s_barrier_signal -1
	s_barrier_wait -1
	s_clause 0x1
	scratch_load_b128 v[9:12], off, off offset:2528
	scratch_load_b128 v[13:16], off, off offset:2544
	s_wait_loadcnt 0x1
	v_cvt_f16_f32_e32 v9, v9
	v_cvt_f16_f32_e32 v10, v10
	v_cvt_f16_f32_e32 v11, v11
	v_cvt_f16_f32_e32 v12, v12
	s_wait_loadcnt 0x0
	v_cvt_f16_f32_e32 v13, v13
	v_cvt_f16_f32_e32 v14, v14
	;; [unrolled: 1-line block ×4, first 2 shown]
	ds_store_b16 v1, v9
	ds_store_b16 v1, v10 offset:128
	ds_store_b16 v1, v11 offset:256
	;; [unrolled: 1-line block ×7, first 2 shown]
	s_wait_dscnt 0x0
	s_barrier_signal -1
	s_barrier_wait -1
	ds_load_b128 v[11:14], v0
	v_mov_b32_e32 v9, 0x100
	v_mov_b32_e32 v10, 0x108
	s_delay_alu instid0(VALU_DEP_2) | instskip(SKIP_2) | instid1(VALU_DEP_2)
	v_cndmask_b32_e64 v15, 0x80000100, v9, s8
	s_and_b32 s8, s7, s3
	s_wait_alu 0xfffe
	v_cndmask_b32_e64 v16, 0x80000108, v10, s8
	s_and_b32 s8, s7, s6
	v_add_nc_u32_e32 v15, v19, v15
	s_and_b32 s7, s7, s5
	s_delay_alu instid0(VALU_DEP_2)
	v_add_nc_u32_e32 v16, v19, v16
	s_wait_dscnt 0x0
	s_clause 0x1
	buffer_store_b64 v[11:12], v15, s[24:27], null offen
	buffer_store_b64 v[13:14], v16, s[24:27], null offen
	s_wait_dscnt 0x0
	s_barrier_signal -1
	s_barrier_wait -1
	s_clause 0x1
	scratch_load_b128 v[11:14], off, off offset:2560
	scratch_load_b128 v[15:18], off, off offset:2576
	s_wait_loadcnt 0x1
	v_cvt_f16_f32_e32 v11, v11
	v_cvt_f16_f32_e32 v12, v12
	;; [unrolled: 1-line block ×4, first 2 shown]
	s_wait_loadcnt 0x0
	v_cvt_f16_f32_e32 v15, v15
	v_cvt_f16_f32_e32 v16, v16
	v_cvt_f16_f32_e32 v17, v17
	v_cvt_f16_f32_e32 v18, v18
	ds_store_b16 v1, v11
	ds_store_b16 v1, v12 offset:128
	ds_store_b16 v1, v13 offset:256
	;; [unrolled: 1-line block ×7, first 2 shown]
	s_wait_dscnt 0x0
	s_barrier_signal -1
	s_barrier_wait -1
	ds_load_b128 v[12:15], v0
	v_mov_b32_e32 v11, 0x188
	v_cndmask_b32_e64 v16, 0x80000000, 0, s8
	s_delay_alu instid0(VALU_DEP_2) | instskip(NEXT) | instid1(VALU_DEP_2)
	v_cndmask_b32_e64 v17, 0x80000188, v11, s7
	v_lshl_add_u32 v16, v21, 1, v16
	v_cmp_gt_i32_e64 s7, s20, v22
	v_add_lshl_u32 v21, v21, s9, 1
	s_delay_alu instid0(VALU_DEP_4)
	v_add_nc_u32_e32 v17, v19, v17
	s_wait_dscnt 0x0
	s_clause 0x1
	buffer_store_b64 v[12:13], v16, s[24:27], null offen
	buffer_store_b64 v[14:15], v17, s[24:27], null offen
	s_wait_dscnt 0x0
	s_barrier_signal -1
	s_barrier_wait -1
	s_clause 0x1
	scratch_load_b128 v[12:15], off, off offset:2688
	scratch_load_b128 v[16:19], off, off offset:2704
	s_and_b32 s8, s7, s6
	s_wait_loadcnt 0x1
	v_cvt_f16_f32_e32 v12, v12
	v_cvt_f16_f32_e32 v13, v13
	;; [unrolled: 1-line block ×4, first 2 shown]
	s_wait_loadcnt 0x0
	v_cvt_f16_f32_e32 v16, v16
	v_cvt_f16_f32_e32 v17, v17
	;; [unrolled: 1-line block ×4, first 2 shown]
	ds_store_b16 v1, v12
	ds_store_b16 v1, v13 offset:128
	ds_store_b16 v1, v14 offset:256
	;; [unrolled: 1-line block ×7, first 2 shown]
	s_wait_dscnt 0x0
	s_barrier_signal -1
	s_barrier_wait -1
	ds_load_b128 v[12:15], v0
	s_wait_alu 0xfffe
	v_cndmask_b32_e64 v16, 0x80000000, 0, s8
	s_and_b32 s8, s7, s5
	s_wait_alu 0xfffe
	v_cndmask_b32_e64 v17, 0x80000008, 8, s8
	s_and_b32 s8, s7, s4
	v_add_nc_u32_e32 v16, v21, v16
	s_delay_alu instid0(VALU_DEP_2)
	v_add_nc_u32_e32 v17, v21, v17
	s_wait_dscnt 0x0
	s_clause 0x1
	buffer_store_b64 v[12:13], v16, s[24:27], null offen
	buffer_store_b64 v[14:15], v17, s[24:27], null offen
	s_wait_dscnt 0x0
	s_barrier_signal -1
	s_barrier_wait -1
	s_clause 0x1
	scratch_load_b128 v[12:15], off, off offset:2656
	scratch_load_b128 v[16:19], off, off offset:2672
	s_wait_loadcnt 0x1
	v_cvt_f16_f32_e32 v12, v12
	v_cvt_f16_f32_e32 v13, v13
	;; [unrolled: 1-line block ×4, first 2 shown]
	s_wait_loadcnt 0x0
	v_cvt_f16_f32_e32 v16, v16
	v_cvt_f16_f32_e32 v17, v17
	;; [unrolled: 1-line block ×4, first 2 shown]
	ds_store_b16 v1, v12
	ds_store_b16 v1, v13 offset:128
	ds_store_b16 v1, v14 offset:256
	;; [unrolled: 1-line block ×7, first 2 shown]
	s_wait_dscnt 0x0
	s_barrier_signal -1
	s_barrier_wait -1
	ds_load_b128 v[12:15], v0
	v_cndmask_b32_e64 v16, 0x7fffff80, v3, s8
	s_and_b32 s8, s7, s3
	s_wait_alu 0xfffe
	v_cndmask_b32_e64 v17, 0x7fffff88, v4, s8
	s_and_b32 s8, s7, s2
	v_add_nc_u32_e32 v16, v21, v16
	s_delay_alu instid0(VALU_DEP_2)
	v_add_nc_u32_e32 v17, v21, v17
	s_wait_dscnt 0x0
	s_clause 0x1
	buffer_store_b64 v[12:13], v16, s[24:27], null offen
	buffer_store_b64 v[14:15], v17, s[24:27], null offen
	s_wait_dscnt 0x0
	s_barrier_signal -1
	s_barrier_wait -1
	s_clause 0x1
	scratch_load_b128 v[12:15], off, off offset:2624
	scratch_load_b128 v[16:19], off, off offset:2640
	s_wait_loadcnt 0x1
	v_cvt_f16_f32_e32 v12, v12
	v_cvt_f16_f32_e32 v13, v13
	;; [unrolled: 1-line block ×4, first 2 shown]
	s_wait_loadcnt 0x0
	v_cvt_f16_f32_e32 v16, v16
	v_cvt_f16_f32_e32 v17, v17
	;; [unrolled: 1-line block ×4, first 2 shown]
	ds_store_b16 v1, v12
	ds_store_b16 v1, v13 offset:128
	ds_store_b16 v1, v14 offset:256
	;; [unrolled: 1-line block ×7, first 2 shown]
	s_wait_dscnt 0x0
	s_barrier_signal -1
	s_barrier_wait -1
	ds_load_b128 v[12:15], v0
	v_cndmask_b32_e64 v16, 0x7fffff00, v5, s8
	s_and_b32 s8, s7, s1
	s_wait_alu 0xfffe
	v_cndmask_b32_e64 v17, 0x7fffff08, v6, s8
	s_and_b32 s8, s0, s7
	v_add_nc_u32_e32 v16, v21, v16
	s_and_b32 s7, s7, vcc_lo
	s_delay_alu instid0(VALU_DEP_2)
	v_add_nc_u32_e32 v17, v21, v17
	s_wait_dscnt 0x0
	s_clause 0x1
	buffer_store_b64 v[12:13], v16, s[24:27], null offen
	buffer_store_b64 v[14:15], v17, s[24:27], null offen
	s_wait_dscnt 0x0
	s_barrier_signal -1
	s_barrier_wait -1
	s_clause 0x1
	scratch_load_b128 v[12:15], off, off offset:2592
	scratch_load_b128 v[16:19], off, off offset:2608
	v_or_b32_e32 v21, 0x80, v2
	s_wait_loadcnt 0x1
	v_cvt_f16_f32_e32 v12, v12
	v_cvt_f16_f32_e32 v13, v13
	;; [unrolled: 1-line block ×4, first 2 shown]
	s_wait_loadcnt 0x0
	v_cvt_f16_f32_e32 v16, v16
	v_cvt_f16_f32_e32 v17, v17
	;; [unrolled: 1-line block ×4, first 2 shown]
	ds_store_b16 v1, v12
	ds_store_b16 v1, v13 offset:128
	ds_store_b16 v1, v14 offset:256
	ds_store_b16 v1, v15 offset:384
	ds_store_b16 v1, v16 offset:512
	ds_store_b16 v1, v17 offset:640
	ds_store_b16 v1, v18 offset:768
	ds_store_b16 v1, v19 offset:896
	s_wait_dscnt 0x0
	s_barrier_signal -1
	s_barrier_wait -1
	ds_load_b128 v[12:15], v0
	v_cndmask_b32_e64 v16, 0x80000000, 0, s8
	v_lshlrev_b32_e32 v17, 1, v20
	v_cndmask_b32_e64 v18, 0x80000008, 8, s7
	v_cmp_gt_i32_e64 s7, s20, v21
	v_add_nc_u32_e32 v20, s9, v20
	s_delay_alu instid0(VALU_DEP_4) | instskip(NEXT) | instid1(VALU_DEP_4)
	v_add_nc_u32_e32 v16, v17, v16
	v_add_nc_u32_e32 v17, v17, v18
	s_wait_dscnt 0x0
	s_clause 0x1
	buffer_store_b64 v[12:13], v16, s[24:27], null offen
	buffer_store_b64 v[14:15], v17, s[24:27], null offen
	s_wait_dscnt 0x0
	s_barrier_signal -1
	s_barrier_wait -1
	s_clause 0x1
	scratch_load_b128 v[12:15], off, off offset:2720
	scratch_load_b128 v[16:19], off, off offset:2736
	s_and_b32 s8, s0, s7
	v_lshlrev_b32_e32 v21, 1, v20
	v_add_nc_u32_e32 v22, 0xc0, v20
	v_add_nc_u32_e32 v20, s9, v20
	s_wait_loadcnt 0x1
	v_cvt_f16_f32_e32 v12, v12
	v_cvt_f16_f32_e32 v13, v13
	;; [unrolled: 1-line block ×4, first 2 shown]
	s_wait_loadcnt 0x0
	v_cvt_f16_f32_e32 v16, v16
	v_cvt_f16_f32_e32 v17, v17
	;; [unrolled: 1-line block ×4, first 2 shown]
	ds_store_b16 v1, v12
	ds_store_b16 v1, v13 offset:128
	ds_store_b16 v1, v14 offset:256
	;; [unrolled: 1-line block ×7, first 2 shown]
	s_wait_dscnt 0x0
	s_barrier_signal -1
	s_barrier_wait -1
	ds_load_b128 v[12:15], v0
	s_wait_alu 0xfffe
	v_cndmask_b32_e64 v16, 0x80000000, 0, s8
	s_and_b32 s8, s7, vcc_lo
	s_wait_alu 0xfffe
	v_cndmask_b32_e64 v17, 0x80000008, 8, s8
	s_and_b32 s8, s7, s2
	v_add_nc_u32_e32 v16, v21, v16
	s_delay_alu instid0(VALU_DEP_2)
	v_add_nc_u32_e32 v17, v21, v17
	s_wait_dscnt 0x0
	s_clause 0x1
	buffer_store_b64 v[12:13], v16, s[24:27], null offen
	buffer_store_b64 v[14:15], v17, s[24:27], null offen
	s_wait_dscnt 0x0
	s_barrier_signal -1
	s_barrier_wait -1
	s_clause 0x1
	scratch_load_b128 v[12:15], off, off offset:2752
	scratch_load_b128 v[16:19], off, off offset:2768
	s_wait_loadcnt 0x1
	v_cvt_f16_f32_e32 v12, v12
	v_cvt_f16_f32_e32 v13, v13
	;; [unrolled: 1-line block ×4, first 2 shown]
	s_wait_loadcnt 0x0
	v_cvt_f16_f32_e32 v16, v16
	v_cvt_f16_f32_e32 v17, v17
	;; [unrolled: 1-line block ×4, first 2 shown]
	ds_store_b16 v1, v12
	ds_store_b16 v1, v13 offset:128
	ds_store_b16 v1, v14 offset:256
	ds_store_b16 v1, v15 offset:384
	ds_store_b16 v1, v16 offset:512
	ds_store_b16 v1, v17 offset:640
	ds_store_b16 v1, v18 offset:768
	ds_store_b16 v1, v19 offset:896
	s_wait_dscnt 0x0
	s_barrier_signal -1
	s_barrier_wait -1
	ds_load_b128 v[12:15], v0
	v_cndmask_b32_e64 v16, 0x80000080, v7, s8
	s_and_b32 s8, s7, s1
	s_wait_alu 0xfffe
	v_cndmask_b32_e64 v17, 0x80000088, v8, s8
	s_and_b32 s8, s7, s4
	v_add_nc_u32_e32 v16, v21, v16
	s_delay_alu instid0(VALU_DEP_2)
	v_add_nc_u32_e32 v17, v21, v17
	s_wait_dscnt 0x0
	s_clause 0x1
	buffer_store_b64 v[12:13], v16, s[24:27], null offen
	buffer_store_b64 v[14:15], v17, s[24:27], null offen
	s_wait_dscnt 0x0
	s_barrier_signal -1
	s_barrier_wait -1
	s_clause 0x1
	scratch_load_b128 v[12:15], off, off offset:2784
	scratch_load_b128 v[16:19], off, off offset:2800
	s_wait_loadcnt 0x1
	v_cvt_f16_f32_e32 v12, v12
	v_cvt_f16_f32_e32 v13, v13
	;; [unrolled: 1-line block ×4, first 2 shown]
	s_wait_loadcnt 0x0
	v_cvt_f16_f32_e32 v16, v16
	v_cvt_f16_f32_e32 v17, v17
	;; [unrolled: 1-line block ×4, first 2 shown]
	ds_store_b16 v1, v12
	ds_store_b16 v1, v13 offset:128
	ds_store_b16 v1, v14 offset:256
	;; [unrolled: 1-line block ×7, first 2 shown]
	s_wait_dscnt 0x0
	s_barrier_signal -1
	s_barrier_wait -1
	ds_load_b128 v[12:15], v0
	v_cndmask_b32_e64 v16, 0x80000100, v9, s8
	s_and_b32 s8, s7, s3
	s_wait_alu 0xfffe
	v_cndmask_b32_e64 v17, 0x80000108, v10, s8
	s_and_b32 s8, s7, s6
	v_add_nc_u32_e32 v16, v21, v16
	s_and_b32 s7, s7, s5
	s_delay_alu instid0(VALU_DEP_2)
	v_add_nc_u32_e32 v17, v21, v17
	s_wait_dscnt 0x0
	s_clause 0x1
	buffer_store_b64 v[12:13], v16, s[24:27], null offen
	buffer_store_b64 v[14:15], v17, s[24:27], null offen
	s_wait_dscnt 0x0
	s_barrier_signal -1
	s_barrier_wait -1
	s_clause 0x1
	scratch_load_b128 v[12:15], off, off offset:2816
	scratch_load_b128 v[16:19], off, off offset:2832
	s_wait_loadcnt 0x1
	v_cvt_f16_f32_e32 v12, v12
	v_cvt_f16_f32_e32 v13, v13
	;; [unrolled: 1-line block ×4, first 2 shown]
	s_wait_loadcnt 0x0
	v_cvt_f16_f32_e32 v16, v16
	v_cvt_f16_f32_e32 v17, v17
	;; [unrolled: 1-line block ×4, first 2 shown]
	ds_store_b16 v1, v12
	ds_store_b16 v1, v13 offset:128
	ds_store_b16 v1, v14 offset:256
	;; [unrolled: 1-line block ×7, first 2 shown]
	s_wait_dscnt 0x0
	s_barrier_signal -1
	s_barrier_wait -1
	ds_load_b128 v[12:15], v0
	v_cndmask_b32_e64 v16, 0x80000000, 0, s8
	v_cndmask_b32_e64 v17, 0x80000188, v11, s7
	s_delay_alu instid0(VALU_DEP_2) | instskip(NEXT) | instid1(VALU_DEP_2)
	v_lshl_add_u32 v16, v22, 1, v16
	v_add_nc_u32_e32 v17, v21, v17
	s_wait_dscnt 0x0
	s_clause 0x1
	buffer_store_b64 v[12:13], v16, s[24:27], null offen
	buffer_store_b64 v[14:15], v17, s[24:27], null offen
	s_wait_dscnt 0x0
	s_barrier_signal -1
	s_barrier_wait -1
	s_clause 0x1
	scratch_load_b128 v[12:15], off, off offset:2944
	scratch_load_b128 v[16:19], off, off offset:2960
	v_or_b32_e32 v21, 0xa0, v2
	s_delay_alu instid0(VALU_DEP_1)
	v_cmp_gt_i32_e64 s7, s20, v21
	v_add_lshl_u32 v21, v22, s9, 1
	s_and_b32 s8, s7, s6
	s_wait_loadcnt 0x1
	v_cvt_f16_f32_e32 v12, v12
	v_cvt_f16_f32_e32 v13, v13
	;; [unrolled: 1-line block ×4, first 2 shown]
	s_wait_loadcnt 0x0
	v_cvt_f16_f32_e32 v16, v16
	v_cvt_f16_f32_e32 v17, v17
	;; [unrolled: 1-line block ×4, first 2 shown]
	ds_store_b16 v1, v12
	ds_store_b16 v1, v13 offset:128
	ds_store_b16 v1, v14 offset:256
	;; [unrolled: 1-line block ×7, first 2 shown]
	s_wait_dscnt 0x0
	s_barrier_signal -1
	s_barrier_wait -1
	ds_load_b128 v[12:15], v0
	s_wait_alu 0xfffe
	v_cndmask_b32_e64 v16, 0x80000000, 0, s8
	s_and_b32 s8, s7, s5
	s_wait_alu 0xfffe
	v_cndmask_b32_e64 v17, 0x80000008, 8, s8
	s_and_b32 s8, s7, s4
	v_add_nc_u32_e32 v16, v21, v16
	s_delay_alu instid0(VALU_DEP_2)
	v_add_nc_u32_e32 v17, v21, v17
	s_wait_dscnt 0x0
	s_clause 0x1
	buffer_store_b64 v[12:13], v16, s[24:27], null offen
	buffer_store_b64 v[14:15], v17, s[24:27], null offen
	s_wait_dscnt 0x0
	s_barrier_signal -1
	s_barrier_wait -1
	s_clause 0x1
	scratch_load_b128 v[12:15], off, off offset:2912
	scratch_load_b128 v[16:19], off, off offset:2928
	s_wait_loadcnt 0x1
	v_cvt_f16_f32_e32 v12, v12
	v_cvt_f16_f32_e32 v13, v13
	;; [unrolled: 1-line block ×4, first 2 shown]
	s_wait_loadcnt 0x0
	v_cvt_f16_f32_e32 v16, v16
	v_cvt_f16_f32_e32 v17, v17
	;; [unrolled: 1-line block ×4, first 2 shown]
	ds_store_b16 v1, v12
	ds_store_b16 v1, v13 offset:128
	ds_store_b16 v1, v14 offset:256
	ds_store_b16 v1, v15 offset:384
	ds_store_b16 v1, v16 offset:512
	ds_store_b16 v1, v17 offset:640
	ds_store_b16 v1, v18 offset:768
	ds_store_b16 v1, v19 offset:896
	s_wait_dscnt 0x0
	s_barrier_signal -1
	s_barrier_wait -1
	ds_load_b128 v[12:15], v0
	v_cndmask_b32_e64 v16, 0x7fffff80, v3, s8
	s_and_b32 s8, s7, s3
	s_wait_alu 0xfffe
	v_cndmask_b32_e64 v17, 0x7fffff88, v4, s8
	s_and_b32 s8, s7, s2
	v_add_nc_u32_e32 v16, v21, v16
	s_delay_alu instid0(VALU_DEP_2)
	v_add_nc_u32_e32 v17, v21, v17
	s_wait_dscnt 0x0
	s_clause 0x1
	buffer_store_b64 v[12:13], v16, s[24:27], null offen
	buffer_store_b64 v[14:15], v17, s[24:27], null offen
	s_wait_dscnt 0x0
	s_barrier_signal -1
	s_barrier_wait -1
	s_clause 0x1
	scratch_load_b128 v[12:15], off, off offset:2880
	scratch_load_b128 v[16:19], off, off offset:2896
	s_wait_loadcnt 0x1
	v_cvt_f16_f32_e32 v12, v12
	v_cvt_f16_f32_e32 v13, v13
	;; [unrolled: 1-line block ×4, first 2 shown]
	s_wait_loadcnt 0x0
	v_cvt_f16_f32_e32 v16, v16
	v_cvt_f16_f32_e32 v17, v17
	;; [unrolled: 1-line block ×4, first 2 shown]
	ds_store_b16 v1, v12
	ds_store_b16 v1, v13 offset:128
	ds_store_b16 v1, v14 offset:256
	;; [unrolled: 1-line block ×7, first 2 shown]
	s_wait_dscnt 0x0
	s_barrier_signal -1
	s_barrier_wait -1
	ds_load_b128 v[12:15], v0
	v_cndmask_b32_e64 v16, 0x7fffff00, v5, s8
	s_and_b32 s8, s7, s1
	s_wait_alu 0xfffe
	v_cndmask_b32_e64 v17, 0x7fffff08, v6, s8
	s_and_b32 s8, s0, s7
	v_add_nc_u32_e32 v16, v21, v16
	s_and_b32 s7, s7, vcc_lo
	s_delay_alu instid0(VALU_DEP_2)
	v_add_nc_u32_e32 v17, v21, v17
	s_wait_dscnt 0x0
	s_clause 0x1
	buffer_store_b64 v[12:13], v16, s[24:27], null offen
	buffer_store_b64 v[14:15], v17, s[24:27], null offen
	s_wait_dscnt 0x0
	s_barrier_signal -1
	s_barrier_wait -1
	s_clause 0x1
	scratch_load_b128 v[12:15], off, off offset:2848
	scratch_load_b128 v[16:19], off, off offset:2864
	v_or_b32_e32 v21, 0xc0, v2
	v_or_b32_e32 v2, 0xe0, v2
	s_wait_loadcnt 0x1
	v_cvt_f16_f32_e32 v12, v12
	v_cvt_f16_f32_e32 v13, v13
	;; [unrolled: 1-line block ×4, first 2 shown]
	s_wait_loadcnt 0x0
	v_cvt_f16_f32_e32 v16, v16
	v_cvt_f16_f32_e32 v17, v17
	v_cvt_f16_f32_e32 v18, v18
	v_cvt_f16_f32_e32 v19, v19
	ds_store_b16 v1, v12
	ds_store_b16 v1, v13 offset:128
	ds_store_b16 v1, v14 offset:256
	;; [unrolled: 1-line block ×7, first 2 shown]
	s_wait_dscnt 0x0
	s_barrier_signal -1
	s_barrier_wait -1
	ds_load_b128 v[12:15], v0
	v_cndmask_b32_e64 v16, 0x80000000, 0, s8
	v_lshlrev_b32_e32 v17, 1, v20
	v_cndmask_b32_e64 v18, 0x80000008, 8, s7
	v_cmp_gt_i32_e64 s7, s20, v21
	v_add_nc_u32_e32 v20, s9, v20
	s_delay_alu instid0(VALU_DEP_4) | instskip(NEXT) | instid1(VALU_DEP_4)
	v_add_nc_u32_e32 v16, v17, v16
	v_add_nc_u32_e32 v17, v17, v18
	s_wait_dscnt 0x0
	s_clause 0x1
	buffer_store_b64 v[12:13], v16, s[24:27], null offen
	buffer_store_b64 v[14:15], v17, s[24:27], null offen
	s_wait_dscnt 0x0
	s_barrier_signal -1
	s_barrier_wait -1
	s_clause 0x1
	scratch_load_b128 v[12:15], off, off offset:2976
	scratch_load_b128 v[16:19], off, off offset:2992
	s_and_b32 s8, s0, s7
	v_lshlrev_b32_e32 v21, 1, v20
	s_wait_loadcnt 0x1
	v_cvt_f16_f32_e32 v12, v12
	v_cvt_f16_f32_e32 v13, v13
	;; [unrolled: 1-line block ×4, first 2 shown]
	s_wait_loadcnt 0x0
	v_cvt_f16_f32_e32 v16, v16
	v_cvt_f16_f32_e32 v17, v17
	;; [unrolled: 1-line block ×4, first 2 shown]
	ds_store_b16 v1, v12
	ds_store_b16 v1, v13 offset:128
	ds_store_b16 v1, v14 offset:256
	;; [unrolled: 1-line block ×7, first 2 shown]
	s_wait_dscnt 0x0
	s_barrier_signal -1
	s_barrier_wait -1
	ds_load_b128 v[12:15], v0
	s_wait_alu 0xfffe
	v_cndmask_b32_e64 v16, 0x80000000, 0, s8
	s_and_b32 s8, s7, vcc_lo
	s_wait_alu 0xfffe
	v_cndmask_b32_e64 v17, 0x80000008, 8, s8
	s_and_b32 s8, s7, s2
	v_add_nc_u32_e32 v16, v21, v16
	s_wait_alu 0xfffe
	v_cndmask_b32_e64 v7, 0x80000080, v7, s8
	s_and_b32 s8, s7, s1
	v_add_nc_u32_e32 v17, v21, v17
	s_wait_dscnt 0x0
	s_clause 0x1
	buffer_store_b64 v[12:13], v16, s[24:27], null offen
	buffer_store_b64 v[14:15], v17, s[24:27], null offen
	s_wait_dscnt 0x0
	s_barrier_signal -1
	s_barrier_wait -1
	s_clause 0x1
	scratch_load_b128 v[12:15], off, off offset:3008
	scratch_load_b128 v[16:19], off, off offset:3024
	v_cndmask_b32_e64 v8, 0x80000088, v8, s8
	v_add_nc_u32_e32 v7, v21, v7
	s_and_b32 s8, s7, s4
	s_delay_alu instid0(VALU_DEP_2)
	v_add_nc_u32_e32 v8, v21, v8
	s_wait_loadcnt 0x1
	v_cvt_f16_f32_e32 v12, v12
	v_cvt_f16_f32_e32 v13, v13
	;; [unrolled: 1-line block ×4, first 2 shown]
	s_wait_loadcnt 0x0
	v_cvt_f16_f32_e32 v16, v16
	v_cvt_f16_f32_e32 v17, v17
	;; [unrolled: 1-line block ×4, first 2 shown]
	ds_store_b16 v1, v12
	ds_store_b16 v1, v13 offset:128
	ds_store_b16 v1, v14 offset:256
	ds_store_b16 v1, v15 offset:384
	ds_store_b16 v1, v16 offset:512
	ds_store_b16 v1, v17 offset:640
	ds_store_b16 v1, v18 offset:768
	ds_store_b16 v1, v19 offset:896
	s_wait_dscnt 0x0
	s_barrier_signal -1
	s_barrier_wait -1
	ds_load_b128 v[12:15], v0
	s_wait_dscnt 0x0
	s_clause 0x1
	buffer_store_b64 v[12:13], v7, s[24:27], null offen
	buffer_store_b64 v[14:15], v8, s[24:27], null offen
	s_wait_dscnt 0x0
	s_barrier_signal -1
	s_barrier_wait -1
	s_clause 0x1
	scratch_load_b128 v[12:15], off, off offset:3040
	scratch_load_b128 v[16:19], off, off offset:3056
	s_wait_loadcnt 0x1
	v_cvt_f16_f32_e32 v7, v12
	v_cvt_f16_f32_e32 v8, v13
	;; [unrolled: 1-line block ×4, first 2 shown]
	s_wait_loadcnt 0x0
	v_cvt_f16_f32_e32 v14, v16
	v_cvt_f16_f32_e32 v15, v17
	;; [unrolled: 1-line block ×4, first 2 shown]
	ds_store_b16 v1, v7
	ds_store_b16 v1, v8 offset:128
	ds_store_b16 v1, v12 offset:256
	;; [unrolled: 1-line block ×7, first 2 shown]
	s_wait_dscnt 0x0
	s_barrier_signal -1
	s_barrier_wait -1
	ds_load_b128 v[12:15], v0
	v_cndmask_b32_e64 v7, 0x80000100, v9, s8
	s_and_b32 s8, s7, s3
	s_wait_alu 0xfffe
	v_cndmask_b32_e64 v8, 0x80000108, v10, s8
	s_and_b32 s8, s7, s6
	v_add_nc_u32_e32 v7, v21, v7
	s_and_b32 s7, s7, s5
	s_delay_alu instid0(VALU_DEP_2)
	v_add_nc_u32_e32 v8, v21, v8
	s_wait_dscnt 0x0
	s_clause 0x1
	buffer_store_b64 v[12:13], v7, s[24:27], null offen
	buffer_store_b64 v[14:15], v8, s[24:27], null offen
	s_wait_dscnt 0x0
	s_barrier_signal -1
	s_barrier_wait -1
	s_clause 0x1
	scratch_load_b128 v[7:10], off, off offset:3072
	scratch_load_b128 v[12:15], off, off offset:3088
	v_cndmask_b32_e64 v11, 0x80000188, v11, s7
	v_cmp_gt_i32_e64 s7, s20, v2
	s_delay_alu instid0(VALU_DEP_2)
	v_add_nc_u32_e32 v11, v21, v11
	s_and_b32 s6, s7, s6
	s_and_b32 s5, s7, s5
	s_wait_alu 0xfffe
	v_cndmask_b32_e64 v2, 0x80000000, 0, s6
	s_and_b32 s4, s7, s4
	s_and_b32 s3, s7, s3
	;; [unrolled: 1-line block ×5, first 2 shown]
	s_wait_loadcnt 0x1
	v_cvt_f16_f32_e32 v7, v7
	v_cvt_f16_f32_e32 v8, v8
	;; [unrolled: 1-line block ×4, first 2 shown]
	s_wait_loadcnt 0x0
	v_cvt_f16_f32_e32 v12, v12
	v_cvt_f16_f32_e32 v13, v13
	;; [unrolled: 1-line block ×4, first 2 shown]
	ds_store_b16 v1, v7
	ds_store_b16 v1, v8 offset:128
	ds_store_b16 v1, v9 offset:256
	;; [unrolled: 1-line block ×7, first 2 shown]
	s_wait_dscnt 0x0
	s_barrier_signal -1
	s_barrier_wait -1
	ds_load_b128 v[7:10], v0
	v_cndmask_b32_e64 v12, 0x80000000, 0, s8
	v_add_nc_u32_e32 v15, 0xc0, v20
	s_delay_alu instid0(VALU_DEP_1)
	v_lshl_add_u32 v12, v15, 1, v12
	s_wait_dscnt 0x0
	s_clause 0x1
	buffer_store_b64 v[7:8], v12, s[24:27], null offen
	buffer_store_b64 v[9:10], v11, s[24:27], null offen
	s_wait_dscnt 0x0
	s_barrier_signal -1
	s_barrier_wait -1
	s_clause 0x1
	scratch_load_b128 v[7:10], off, off offset:3200
	scratch_load_b128 v[11:14], off, off offset:3216
	v_add_lshl_u32 v15, v15, s9, 1
	s_delay_alu instid0(VALU_DEP_1)
	v_add_nc_u32_e32 v2, v15, v2
	s_wait_loadcnt 0x1
	v_cvt_f16_f32_e32 v7, v7
	v_cvt_f16_f32_e32 v8, v8
	v_cvt_f16_f32_e32 v9, v9
	v_cvt_f16_f32_e32 v10, v10
	s_wait_loadcnt 0x0
	v_cvt_f16_f32_e32 v11, v11
	v_cvt_f16_f32_e32 v12, v12
	;; [unrolled: 1-line block ×4, first 2 shown]
	ds_store_b16 v1, v7
	ds_store_b16 v1, v8 offset:128
	ds_store_b16 v1, v9 offset:256
	;; [unrolled: 1-line block ×7, first 2 shown]
	s_wait_dscnt 0x0
	s_barrier_signal -1
	s_barrier_wait -1
	ds_load_b128 v[7:10], v0
	v_cndmask_b32_e64 v11, 0x80000008, 8, s5
	s_delay_alu instid0(VALU_DEP_1)
	v_add_nc_u32_e32 v11, v15, v11
	s_wait_dscnt 0x0
	s_clause 0x1
	buffer_store_b64 v[7:8], v2, s[24:27], null offen
	buffer_store_b64 v[9:10], v11, s[24:27], null offen
	s_wait_dscnt 0x0
	s_barrier_signal -1
	s_barrier_wait -1
	s_clause 0x1
	scratch_load_b128 v[7:10], off, off offset:3168
	scratch_load_b128 v[11:14], off, off offset:3184
	s_wait_loadcnt 0x1
	v_cvt_f16_f32_e32 v2, v7
	v_cvt_f16_f32_e32 v7, v8
	;; [unrolled: 1-line block ×4, first 2 shown]
	s_wait_loadcnt 0x0
	v_cvt_f16_f32_e32 v10, v11
	v_cvt_f16_f32_e32 v11, v12
	;; [unrolled: 1-line block ×4, first 2 shown]
	ds_store_b16 v1, v2
	ds_store_b16 v1, v7 offset:128
	ds_store_b16 v1, v8 offset:256
	;; [unrolled: 1-line block ×7, first 2 shown]
	s_wait_dscnt 0x0
	s_barrier_signal -1
	s_barrier_wait -1
	ds_load_b128 v[7:10], v0
	v_cndmask_b32_e64 v2, 0x7fffff80, v3, s4
	v_cndmask_b32_e64 v3, 0x7fffff88, v4, s3
	s_delay_alu instid0(VALU_DEP_2) | instskip(NEXT) | instid1(VALU_DEP_2)
	v_add_nc_u32_e32 v2, v15, v2
	v_add_nc_u32_e32 v3, v15, v3
	s_wait_dscnt 0x0
	s_clause 0x1
	buffer_store_b64 v[7:8], v2, s[24:27], null offen
	buffer_store_b64 v[9:10], v3, s[24:27], null offen
	s_wait_dscnt 0x0
	s_barrier_signal -1
	s_barrier_wait -1
	s_clause 0x1
	scratch_load_b128 v[7:10], off, off offset:3136
	scratch_load_b128 v[11:14], off, off offset:3152
	s_wait_loadcnt 0x1
	v_cvt_f16_f32_e32 v2, v7
	v_cvt_f16_f32_e32 v3, v8
	;; [unrolled: 1-line block ×4, first 2 shown]
	s_wait_loadcnt 0x0
	v_cvt_f16_f32_e32 v8, v11
	v_cvt_f16_f32_e32 v9, v12
	;; [unrolled: 1-line block ×4, first 2 shown]
	ds_store_b16 v1, v2
	ds_store_b16 v1, v3 offset:128
	ds_store_b16 v1, v4 offset:256
	;; [unrolled: 1-line block ×7, first 2 shown]
	s_wait_dscnt 0x0
	s_barrier_signal -1
	s_barrier_wait -1
	ds_load_b128 v[7:10], v0
	v_cndmask_b32_e64 v2, 0x7fffff00, v5, s2
	v_cndmask_b32_e64 v3, 0x7fffff08, v6, s1
	s_delay_alu instid0(VALU_DEP_2) | instskip(NEXT) | instid1(VALU_DEP_2)
	v_add_nc_u32_e32 v2, v15, v2
	v_add_nc_u32_e32 v3, v15, v3
	s_wait_dscnt 0x0
	s_clause 0x1
	buffer_store_b64 v[7:8], v2, s[24:27], null offen
	buffer_store_b64 v[9:10], v3, s[24:27], null offen
	s_wait_dscnt 0x0
	s_barrier_signal -1
	s_barrier_wait -1
	s_clause 0x1
	scratch_load_b128 v[2:5], off, off offset:3104
	scratch_load_b128 v[6:9], off, off offset:3120
	s_wait_loadcnt 0x1
	v_cvt_f16_f32_e32 v2, v2
	v_cvt_f16_f32_e32 v3, v3
	;; [unrolled: 1-line block ×4, first 2 shown]
	s_wait_loadcnt 0x0
	v_cvt_f16_f32_e32 v6, v6
	v_cvt_f16_f32_e32 v7, v7
	;; [unrolled: 1-line block ×4, first 2 shown]
	ds_store_b16 v1, v2
	ds_store_b16 v1, v3 offset:128
	ds_store_b16 v1, v4 offset:256
	;; [unrolled: 1-line block ×7, first 2 shown]
	s_wait_dscnt 0x0
	s_barrier_signal -1
	s_barrier_wait -1
	ds_load_b128 v[0:3], v0
	v_cndmask_b32_e64 v4, 0x80000000, 0, s0
	s_and_b32 s0, s7, vcc_lo
	v_add_lshl_u32 v5, v20, s9, 1
	s_wait_alu 0xfffe
	v_cndmask_b32_e64 v6, 0x80000008, 8, s0
	s_delay_alu instid0(VALU_DEP_2) | instskip(NEXT) | instid1(VALU_DEP_2)
	v_add_nc_u32_e32 v4, v5, v4
	v_add_nc_u32_e32 v5, v5, v6
	s_wait_dscnt 0x0
	s_clause 0x1
	buffer_store_b64 v[0:1], v4, s[24:27], null offen
	buffer_store_b64 v[2:3], v5, s[24:27], null offen
	s_endpgm
	.section	.rodata,"a",@progbits
	.p2align	6, 0x0
	.amdhsa_kernel _ZN2ck45kernel_gemm_xdl_cshuffle_v3_b_preshuffle_2ldsINS_41GridwiseGemm_xdl_cshuffle_v3_b_preshuffleINS_13tensor_layout4gemm8RowMajorENS3_11ColumnMajorES4_NS_9f8_fnuz_tENS_7pk_i4_tEfDF16_DF16_NS_16tensor_operation12element_wise11PassThroughESA_SA_LNS8_6device18GemmSpecializationE0ELi256ELi256ELi256ELi128ELi16ELi32ELi16ELi16ELi8ELi4ENS_8SequenceIJLi8ELi32ELi1EEEENSD_IJLi1ELi0ELi2EEEESF_Li2ELi16ELi16ELb0ELi0ENSD_IJLi4ELi64ELi1EEEESF_SF_Li2ELi32ELi32ELb0ELi0ELi1ELi1ENSD_IJLi1ELi32ELi1ELi8EEEELi4ELNS_26BlockGemmPipelineSchedulerE0ELNS_24BlockGemmPipelineVersionE2ES6_S6_Lb0ELb0ELi0EEELb1ELNS_25InMemoryDataOperationEnumE0ELi1ELNS_10TailNumberE1EEEvNT_8ArgumentE
		.amdhsa_group_segment_fixed_size 65536
		.amdhsa_private_segment_fixed_size 4400
		.amdhsa_kernarg_size 112
		.amdhsa_user_sgpr_count 2
		.amdhsa_user_sgpr_dispatch_ptr 0
		.amdhsa_user_sgpr_queue_ptr 0
		.amdhsa_user_sgpr_kernarg_segment_ptr 1
		.amdhsa_user_sgpr_dispatch_id 0
		.amdhsa_user_sgpr_private_segment_size 0
		.amdhsa_wavefront_size32 1
		.amdhsa_uses_dynamic_stack 0
		.amdhsa_enable_private_segment 1
		.amdhsa_system_sgpr_workgroup_id_x 1
		.amdhsa_system_sgpr_workgroup_id_y 0
		.amdhsa_system_sgpr_workgroup_id_z 1
		.amdhsa_system_sgpr_workgroup_info 0
		.amdhsa_system_vgpr_workitem_id 0
		.amdhsa_next_free_vgpr 241
		.amdhsa_next_free_sgpr 34
		.amdhsa_reserve_vcc 1
		.amdhsa_float_round_mode_32 0
		.amdhsa_float_round_mode_16_64 0
		.amdhsa_float_denorm_mode_32 3
		.amdhsa_float_denorm_mode_16_64 3
		.amdhsa_fp16_overflow 0
		.amdhsa_workgroup_processor_mode 1
		.amdhsa_memory_ordered 1
		.amdhsa_forward_progress 1
		.amdhsa_inst_pref_size 97
		.amdhsa_round_robin_scheduling 0
		.amdhsa_exception_fp_ieee_invalid_op 0
		.amdhsa_exception_fp_denorm_src 0
		.amdhsa_exception_fp_ieee_div_zero 0
		.amdhsa_exception_fp_ieee_overflow 0
		.amdhsa_exception_fp_ieee_underflow 0
		.amdhsa_exception_fp_ieee_inexact 0
		.amdhsa_exception_int_div_zero 0
	.end_amdhsa_kernel
	.section	.text._ZN2ck45kernel_gemm_xdl_cshuffle_v3_b_preshuffle_2ldsINS_41GridwiseGemm_xdl_cshuffle_v3_b_preshuffleINS_13tensor_layout4gemm8RowMajorENS3_11ColumnMajorES4_NS_9f8_fnuz_tENS_7pk_i4_tEfDF16_DF16_NS_16tensor_operation12element_wise11PassThroughESA_SA_LNS8_6device18GemmSpecializationE0ELi256ELi256ELi256ELi128ELi16ELi32ELi16ELi16ELi8ELi4ENS_8SequenceIJLi8ELi32ELi1EEEENSD_IJLi1ELi0ELi2EEEESF_Li2ELi16ELi16ELb0ELi0ENSD_IJLi4ELi64ELi1EEEESF_SF_Li2ELi32ELi32ELb0ELi0ELi1ELi1ENSD_IJLi1ELi32ELi1ELi8EEEELi4ELNS_26BlockGemmPipelineSchedulerE0ELNS_24BlockGemmPipelineVersionE2ES6_S6_Lb0ELb0ELi0EEELb1ELNS_25InMemoryDataOperationEnumE0ELi1ELNS_10TailNumberE1EEEvNT_8ArgumentE,"axG",@progbits,_ZN2ck45kernel_gemm_xdl_cshuffle_v3_b_preshuffle_2ldsINS_41GridwiseGemm_xdl_cshuffle_v3_b_preshuffleINS_13tensor_layout4gemm8RowMajorENS3_11ColumnMajorES4_NS_9f8_fnuz_tENS_7pk_i4_tEfDF16_DF16_NS_16tensor_operation12element_wise11PassThroughESA_SA_LNS8_6device18GemmSpecializationE0ELi256ELi256ELi256ELi128ELi16ELi32ELi16ELi16ELi8ELi4ENS_8SequenceIJLi8ELi32ELi1EEEENSD_IJLi1ELi0ELi2EEEESF_Li2ELi16ELi16ELb0ELi0ENSD_IJLi4ELi64ELi1EEEESF_SF_Li2ELi32ELi32ELb0ELi0ELi1ELi1ENSD_IJLi1ELi32ELi1ELi8EEEELi4ELNS_26BlockGemmPipelineSchedulerE0ELNS_24BlockGemmPipelineVersionE2ES6_S6_Lb0ELb0ELi0EEELb1ELNS_25InMemoryDataOperationEnumE0ELi1ELNS_10TailNumberE1EEEvNT_8ArgumentE,comdat
.Lfunc_end11:
	.size	_ZN2ck45kernel_gemm_xdl_cshuffle_v3_b_preshuffle_2ldsINS_41GridwiseGemm_xdl_cshuffle_v3_b_preshuffleINS_13tensor_layout4gemm8RowMajorENS3_11ColumnMajorES4_NS_9f8_fnuz_tENS_7pk_i4_tEfDF16_DF16_NS_16tensor_operation12element_wise11PassThroughESA_SA_LNS8_6device18GemmSpecializationE0ELi256ELi256ELi256ELi128ELi16ELi32ELi16ELi16ELi8ELi4ENS_8SequenceIJLi8ELi32ELi1EEEENSD_IJLi1ELi0ELi2EEEESF_Li2ELi16ELi16ELb0ELi0ENSD_IJLi4ELi64ELi1EEEESF_SF_Li2ELi32ELi32ELb0ELi0ELi1ELi1ENSD_IJLi1ELi32ELi1ELi8EEEELi4ELNS_26BlockGemmPipelineSchedulerE0ELNS_24BlockGemmPipelineVersionE2ES6_S6_Lb0ELb0ELi0EEELb1ELNS_25InMemoryDataOperationEnumE0ELi1ELNS_10TailNumberE1EEEvNT_8ArgumentE, .Lfunc_end11-_ZN2ck45kernel_gemm_xdl_cshuffle_v3_b_preshuffle_2ldsINS_41GridwiseGemm_xdl_cshuffle_v3_b_preshuffleINS_13tensor_layout4gemm8RowMajorENS3_11ColumnMajorES4_NS_9f8_fnuz_tENS_7pk_i4_tEfDF16_DF16_NS_16tensor_operation12element_wise11PassThroughESA_SA_LNS8_6device18GemmSpecializationE0ELi256ELi256ELi256ELi128ELi16ELi32ELi16ELi16ELi8ELi4ENS_8SequenceIJLi8ELi32ELi1EEEENSD_IJLi1ELi0ELi2EEEESF_Li2ELi16ELi16ELb0ELi0ENSD_IJLi4ELi64ELi1EEEESF_SF_Li2ELi32ELi32ELb0ELi0ELi1ELi1ENSD_IJLi1ELi32ELi1ELi8EEEELi4ELNS_26BlockGemmPipelineSchedulerE0ELNS_24BlockGemmPipelineVersionE2ES6_S6_Lb0ELb0ELi0EEELb1ELNS_25InMemoryDataOperationEnumE0ELi1ELNS_10TailNumberE1EEEvNT_8ArgumentE
                                        ; -- End function
	.set _ZN2ck45kernel_gemm_xdl_cshuffle_v3_b_preshuffle_2ldsINS_41GridwiseGemm_xdl_cshuffle_v3_b_preshuffleINS_13tensor_layout4gemm8RowMajorENS3_11ColumnMajorES4_NS_9f8_fnuz_tENS_7pk_i4_tEfDF16_DF16_NS_16tensor_operation12element_wise11PassThroughESA_SA_LNS8_6device18GemmSpecializationE0ELi256ELi256ELi256ELi128ELi16ELi32ELi16ELi16ELi8ELi4ENS_8SequenceIJLi8ELi32ELi1EEEENSD_IJLi1ELi0ELi2EEEESF_Li2ELi16ELi16ELb0ELi0ENSD_IJLi4ELi64ELi1EEEESF_SF_Li2ELi32ELi32ELb0ELi0ELi1ELi1ENSD_IJLi1ELi32ELi1ELi8EEEELi4ELNS_26BlockGemmPipelineSchedulerE0ELNS_24BlockGemmPipelineVersionE2ES6_S6_Lb0ELb0ELi0EEELb1ELNS_25InMemoryDataOperationEnumE0ELi1ELNS_10TailNumberE1EEEvNT_8ArgumentE.num_vgpr, max(46, .L_ZNK2ck52BlockwiseGemmXdlops_pipeline_bpreshuffle_bdequant_v3ILNS_26BlockGemmPipelineSchedulerE0ELi256ENS_9f8_fnuz_tENS_7pk_i4_tES2_fNS_16TensorDescriptorINS_5TupleIJNS_5EmbedINS5_IJNS_17integral_constantIiLi8EEENS7_IiLi256EEENS7_IiLi16EEEEEENS5_IJSA_NS7_IiLi128EEENS7_IiLi1EEEEEELb0EEENS_3XorINS5_IJS9_S8_EEELb1EEENS_11PassThroughISA_EENS_7UnMergeINS5_IJS8_SD_EEELb0EEENSJ_IS9_EESK_NSJ_IS8_EENS_21Merge_v3_division_modINS5_IJS9_SD_EEEEESK_EEENS5_IJNS_8SequenceIJLi0EEEENSU_IJLi2ELi1EEEENSU_IJLi3EEEENSU_IJLi5EEEENSU_IJLi4EEEENSU_IJLi6EEEENSU_IJLi7EEEENSU_IJLi9ELi8EEEENSU_IJLi10EEEEEEENS5_IJNSU_IJLi1ELi2ELi3EEEENSU_IJLi4ELi5EEEES10_NSU_IJLi7ELi8EEEENSU_IJLi9EEEES13_NSU_IJLi11EEEENSU_IJLi12EEEENSU_IJLi13EEEEEEENSU_IJLi11ELi12ELi13EEEENS7_IlLl32768EEEEENS4_INS5_IJNSL_INS5_IJNS7_IiLi4EEESD_NS7_IiLi2EEENS7_IiLi32EEEEEELb0EEEEEENS5_IJSV_EEENS5_IJNSU_IJLi1ELi2ELi3ELi4EEEEEEES1N_NS7_IlLl256EEEEENS4_INS5_IJSF_SI_SK_SN_SO_SK_SP_SS_SK_NSQ_INS5_IJS8_SA_EEEEENSL_INS5_IJS8_S1H_SA_EEELb0EEEEEENS5_IJSV_SW_SX_SY_SZ_S10_S11_S12_S13_NSU_IJLi11ELi13EEEES1A_EEENS5_IJS15_S16_S10_S17_S18_S13_S19_S1A_S1B_NSU_IJLi14EEEENSU_IJLi15ELi16ELi17EEEEEEENSU_IJLi15ELi16ELi17ELi14EEEES1E_EENS4_INS5_IJS1K_NSQ_INS5_IJS1G_S1H_EEEEENSL_INS5_IJS1G_S1G_SA_EEELb0EEEEEENS5_IJSV_NSU_IJLi1ELi3EEEENSU_IJLi2EEEEEEENS5_IJS1N_SY_NSU_IJLi6ELi7ELi8EEEEEEENSU_IJLi6ELi7ELi8ELi5EEEES1P_EELi16ELi32ELi256ELi256ELi128ELi16ELi16ELi8ELi4ELi32ELb0EE3RunILb1ELNS_10TailNumberE1ENS4_INS5_IJNS6_INS5_IJiiEEENS5_IJiSD_EEELb0EEENSL_IS2I_Lb0EEENSJ_IiEEEEENS5_IJSV_S29_NSU_IJLi1EEEEEEENS5_IJNSU_IJLi1ELi2EEEENSU_IJLi3ELi4EEEESY_EEENSU_IJLi3ELi5ELi4EEEElEES1F_NS_35ThreadGroupTensorSliceTransfer_v4r1INS_15ThisThreadBlockILi256EEENS_16tensor_operation12element_wise11PassThroughES30_LNS_25InMemoryDataOperationEnumE0ENSU_IJLi8ELi256ELi16EEEENSU_IJLi8ELi32ELi1EEEENSU_IJLi1ELi0ELi2EEEES2_S2_RKS2U_KS1F_S34_NSU_IJLi0ELi1ELi2EEEELi2ELi2ELi16ELi16ELi1ELi1ELb0ELb1ELi2EiEENS_13DynamicBufferILNS_16AddressSpaceEnumE1EKS2_lLb1ELNS_22AmdBufferCoherenceEnumE0EiEENS5_IJNS3A_ILS3B_2ES2_S1E_Lb1ELS3D_0EiEES3F_EEENS5_IJiiiEEENS4_INS5_IJNS6_INS5_IJiiiiEEENS5_IJiiiSD_EEELb0EEEEEES1M_S1O_S1N_lEENS_32ThreadwiseTensorSliceTransfer_v2IS3_S3_RKS3M_KS1Q_NSU_IJLi4ELi1ELi2ELi32EEEENSU_IJLi1ELi2ELi0ELi3EEEELi3ELi32ELi0ELb1ELb0ELb0EEENS3A_ILS3B_1EKS3_lLb1ELS3D_0EiEENS5_IJNS_12StaticBufferILS3B_4ES3_Li256ELb1EEES3X_EEES3I_NS_25StaticBufferTupleOfVectorILS3B_4EfLi32ELi8ELb1ELb0EEEEEvRKT1_RKT2_RT3_RKT4_RT5_RKT6_RKT7_RT8_RKT9_RT10_RKT11_RT12_i.num_vgpr)
	.set _ZN2ck45kernel_gemm_xdl_cshuffle_v3_b_preshuffle_2ldsINS_41GridwiseGemm_xdl_cshuffle_v3_b_preshuffleINS_13tensor_layout4gemm8RowMajorENS3_11ColumnMajorES4_NS_9f8_fnuz_tENS_7pk_i4_tEfDF16_DF16_NS_16tensor_operation12element_wise11PassThroughESA_SA_LNS8_6device18GemmSpecializationE0ELi256ELi256ELi256ELi128ELi16ELi32ELi16ELi16ELi8ELi4ENS_8SequenceIJLi8ELi32ELi1EEEENSD_IJLi1ELi0ELi2EEEESF_Li2ELi16ELi16ELb0ELi0ENSD_IJLi4ELi64ELi1EEEESF_SF_Li2ELi32ELi32ELb0ELi0ELi1ELi1ENSD_IJLi1ELi32ELi1ELi8EEEELi4ELNS_26BlockGemmPipelineSchedulerE0ELNS_24BlockGemmPipelineVersionE2ES6_S6_Lb0ELb0ELi0EEELb1ELNS_25InMemoryDataOperationEnumE0ELi1ELNS_10TailNumberE1EEEvNT_8ArgumentE.num_agpr, max(0, .L_ZNK2ck52BlockwiseGemmXdlops_pipeline_bpreshuffle_bdequant_v3ILNS_26BlockGemmPipelineSchedulerE0ELi256ENS_9f8_fnuz_tENS_7pk_i4_tES2_fNS_16TensorDescriptorINS_5TupleIJNS_5EmbedINS5_IJNS_17integral_constantIiLi8EEENS7_IiLi256EEENS7_IiLi16EEEEEENS5_IJSA_NS7_IiLi128EEENS7_IiLi1EEEEEELb0EEENS_3XorINS5_IJS9_S8_EEELb1EEENS_11PassThroughISA_EENS_7UnMergeINS5_IJS8_SD_EEELb0EEENSJ_IS9_EESK_NSJ_IS8_EENS_21Merge_v3_division_modINS5_IJS9_SD_EEEEESK_EEENS5_IJNS_8SequenceIJLi0EEEENSU_IJLi2ELi1EEEENSU_IJLi3EEEENSU_IJLi5EEEENSU_IJLi4EEEENSU_IJLi6EEEENSU_IJLi7EEEENSU_IJLi9ELi8EEEENSU_IJLi10EEEEEEENS5_IJNSU_IJLi1ELi2ELi3EEEENSU_IJLi4ELi5EEEES10_NSU_IJLi7ELi8EEEENSU_IJLi9EEEES13_NSU_IJLi11EEEENSU_IJLi12EEEENSU_IJLi13EEEEEEENSU_IJLi11ELi12ELi13EEEENS7_IlLl32768EEEEENS4_INS5_IJNSL_INS5_IJNS7_IiLi4EEESD_NS7_IiLi2EEENS7_IiLi32EEEEEELb0EEEEEENS5_IJSV_EEENS5_IJNSU_IJLi1ELi2ELi3ELi4EEEEEEES1N_NS7_IlLl256EEEEENS4_INS5_IJSF_SI_SK_SN_SO_SK_SP_SS_SK_NSQ_INS5_IJS8_SA_EEEEENSL_INS5_IJS8_S1H_SA_EEELb0EEEEEENS5_IJSV_SW_SX_SY_SZ_S10_S11_S12_S13_NSU_IJLi11ELi13EEEES1A_EEENS5_IJS15_S16_S10_S17_S18_S13_S19_S1A_S1B_NSU_IJLi14EEEENSU_IJLi15ELi16ELi17EEEEEEENSU_IJLi15ELi16ELi17ELi14EEEES1E_EENS4_INS5_IJS1K_NSQ_INS5_IJS1G_S1H_EEEEENSL_INS5_IJS1G_S1G_SA_EEELb0EEEEEENS5_IJSV_NSU_IJLi1ELi3EEEENSU_IJLi2EEEEEEENS5_IJS1N_SY_NSU_IJLi6ELi7ELi8EEEEEEENSU_IJLi6ELi7ELi8ELi5EEEES1P_EELi16ELi32ELi256ELi256ELi128ELi16ELi16ELi8ELi4ELi32ELb0EE3RunILb1ELNS_10TailNumberE1ENS4_INS5_IJNS6_INS5_IJiiEEENS5_IJiSD_EEELb0EEENSL_IS2I_Lb0EEENSJ_IiEEEEENS5_IJSV_S29_NSU_IJLi1EEEEEEENS5_IJNSU_IJLi1ELi2EEEENSU_IJLi3ELi4EEEESY_EEENSU_IJLi3ELi5ELi4EEEElEES1F_NS_35ThreadGroupTensorSliceTransfer_v4r1INS_15ThisThreadBlockILi256EEENS_16tensor_operation12element_wise11PassThroughES30_LNS_25InMemoryDataOperationEnumE0ENSU_IJLi8ELi256ELi16EEEENSU_IJLi8ELi32ELi1EEEENSU_IJLi1ELi0ELi2EEEES2_S2_RKS2U_KS1F_S34_NSU_IJLi0ELi1ELi2EEEELi2ELi2ELi16ELi16ELi1ELi1ELb0ELb1ELi2EiEENS_13DynamicBufferILNS_16AddressSpaceEnumE1EKS2_lLb1ELNS_22AmdBufferCoherenceEnumE0EiEENS5_IJNS3A_ILS3B_2ES2_S1E_Lb1ELS3D_0EiEES3F_EEENS5_IJiiiEEENS4_INS5_IJNS6_INS5_IJiiiiEEENS5_IJiiiSD_EEELb0EEEEEES1M_S1O_S1N_lEENS_32ThreadwiseTensorSliceTransfer_v2IS3_S3_RKS3M_KS1Q_NSU_IJLi4ELi1ELi2ELi32EEEENSU_IJLi1ELi2ELi0ELi3EEEELi3ELi32ELi0ELb1ELb0ELb0EEENS3A_ILS3B_1EKS3_lLb1ELS3D_0EiEENS5_IJNS_12StaticBufferILS3B_4ES3_Li256ELb1EEES3X_EEES3I_NS_25StaticBufferTupleOfVectorILS3B_4EfLi32ELi8ELb1ELb0EEEEEvRKT1_RKT2_RT3_RKT4_RT5_RKT6_RKT7_RT8_RKT9_RT10_RKT11_RT12_i.num_agpr)
	.set _ZN2ck45kernel_gemm_xdl_cshuffle_v3_b_preshuffle_2ldsINS_41GridwiseGemm_xdl_cshuffle_v3_b_preshuffleINS_13tensor_layout4gemm8RowMajorENS3_11ColumnMajorES4_NS_9f8_fnuz_tENS_7pk_i4_tEfDF16_DF16_NS_16tensor_operation12element_wise11PassThroughESA_SA_LNS8_6device18GemmSpecializationE0ELi256ELi256ELi256ELi128ELi16ELi32ELi16ELi16ELi8ELi4ENS_8SequenceIJLi8ELi32ELi1EEEENSD_IJLi1ELi0ELi2EEEESF_Li2ELi16ELi16ELb0ELi0ENSD_IJLi4ELi64ELi1EEEESF_SF_Li2ELi32ELi32ELb0ELi0ELi1ELi1ENSD_IJLi1ELi32ELi1ELi8EEEELi4ELNS_26BlockGemmPipelineSchedulerE0ELNS_24BlockGemmPipelineVersionE2ES6_S6_Lb0ELb0ELi0EEELb1ELNS_25InMemoryDataOperationEnumE0ELi1ELNS_10TailNumberE1EEEvNT_8ArgumentE.numbered_sgpr, max(33, .L_ZNK2ck52BlockwiseGemmXdlops_pipeline_bpreshuffle_bdequant_v3ILNS_26BlockGemmPipelineSchedulerE0ELi256ENS_9f8_fnuz_tENS_7pk_i4_tES2_fNS_16TensorDescriptorINS_5TupleIJNS_5EmbedINS5_IJNS_17integral_constantIiLi8EEENS7_IiLi256EEENS7_IiLi16EEEEEENS5_IJSA_NS7_IiLi128EEENS7_IiLi1EEEEEELb0EEENS_3XorINS5_IJS9_S8_EEELb1EEENS_11PassThroughISA_EENS_7UnMergeINS5_IJS8_SD_EEELb0EEENSJ_IS9_EESK_NSJ_IS8_EENS_21Merge_v3_division_modINS5_IJS9_SD_EEEEESK_EEENS5_IJNS_8SequenceIJLi0EEEENSU_IJLi2ELi1EEEENSU_IJLi3EEEENSU_IJLi5EEEENSU_IJLi4EEEENSU_IJLi6EEEENSU_IJLi7EEEENSU_IJLi9ELi8EEEENSU_IJLi10EEEEEEENS5_IJNSU_IJLi1ELi2ELi3EEEENSU_IJLi4ELi5EEEES10_NSU_IJLi7ELi8EEEENSU_IJLi9EEEES13_NSU_IJLi11EEEENSU_IJLi12EEEENSU_IJLi13EEEEEEENSU_IJLi11ELi12ELi13EEEENS7_IlLl32768EEEEENS4_INS5_IJNSL_INS5_IJNS7_IiLi4EEESD_NS7_IiLi2EEENS7_IiLi32EEEEEELb0EEEEEENS5_IJSV_EEENS5_IJNSU_IJLi1ELi2ELi3ELi4EEEEEEES1N_NS7_IlLl256EEEEENS4_INS5_IJSF_SI_SK_SN_SO_SK_SP_SS_SK_NSQ_INS5_IJS8_SA_EEEEENSL_INS5_IJS8_S1H_SA_EEELb0EEEEEENS5_IJSV_SW_SX_SY_SZ_S10_S11_S12_S13_NSU_IJLi11ELi13EEEES1A_EEENS5_IJS15_S16_S10_S17_S18_S13_S19_S1A_S1B_NSU_IJLi14EEEENSU_IJLi15ELi16ELi17EEEEEEENSU_IJLi15ELi16ELi17ELi14EEEES1E_EENS4_INS5_IJS1K_NSQ_INS5_IJS1G_S1H_EEEEENSL_INS5_IJS1G_S1G_SA_EEELb0EEEEEENS5_IJSV_NSU_IJLi1ELi3EEEENSU_IJLi2EEEEEEENS5_IJS1N_SY_NSU_IJLi6ELi7ELi8EEEEEEENSU_IJLi6ELi7ELi8ELi5EEEES1P_EELi16ELi32ELi256ELi256ELi128ELi16ELi16ELi8ELi4ELi32ELb0EE3RunILb1ELNS_10TailNumberE1ENS4_INS5_IJNS6_INS5_IJiiEEENS5_IJiSD_EEELb0EEENSL_IS2I_Lb0EEENSJ_IiEEEEENS5_IJSV_S29_NSU_IJLi1EEEEEEENS5_IJNSU_IJLi1ELi2EEEENSU_IJLi3ELi4EEEESY_EEENSU_IJLi3ELi5ELi4EEEElEES1F_NS_35ThreadGroupTensorSliceTransfer_v4r1INS_15ThisThreadBlockILi256EEENS_16tensor_operation12element_wise11PassThroughES30_LNS_25InMemoryDataOperationEnumE0ENSU_IJLi8ELi256ELi16EEEENSU_IJLi8ELi32ELi1EEEENSU_IJLi1ELi0ELi2EEEES2_S2_RKS2U_KS1F_S34_NSU_IJLi0ELi1ELi2EEEELi2ELi2ELi16ELi16ELi1ELi1ELb0ELb1ELi2EiEENS_13DynamicBufferILNS_16AddressSpaceEnumE1EKS2_lLb1ELNS_22AmdBufferCoherenceEnumE0EiEENS5_IJNS3A_ILS3B_2ES2_S1E_Lb1ELS3D_0EiEES3F_EEENS5_IJiiiEEENS4_INS5_IJNS6_INS5_IJiiiiEEENS5_IJiiiSD_EEELb0EEEEEES1M_S1O_S1N_lEENS_32ThreadwiseTensorSliceTransfer_v2IS3_S3_RKS3M_KS1Q_NSU_IJLi4ELi1ELi2ELi32EEEENSU_IJLi1ELi2ELi0ELi3EEEELi3ELi32ELi0ELb1ELb0ELb0EEENS3A_ILS3B_1EKS3_lLb1ELS3D_0EiEENS5_IJNS_12StaticBufferILS3B_4ES3_Li256ELb1EEES3X_EEES3I_NS_25StaticBufferTupleOfVectorILS3B_4EfLi32ELi8ELb1ELb0EEEEEvRKT1_RKT2_RT3_RKT4_RT5_RKT6_RKT7_RT8_RKT9_RT10_RKT11_RT12_i.numbered_sgpr)
	.set _ZN2ck45kernel_gemm_xdl_cshuffle_v3_b_preshuffle_2ldsINS_41GridwiseGemm_xdl_cshuffle_v3_b_preshuffleINS_13tensor_layout4gemm8RowMajorENS3_11ColumnMajorES4_NS_9f8_fnuz_tENS_7pk_i4_tEfDF16_DF16_NS_16tensor_operation12element_wise11PassThroughESA_SA_LNS8_6device18GemmSpecializationE0ELi256ELi256ELi256ELi128ELi16ELi32ELi16ELi16ELi8ELi4ENS_8SequenceIJLi8ELi32ELi1EEEENSD_IJLi1ELi0ELi2EEEESF_Li2ELi16ELi16ELb0ELi0ENSD_IJLi4ELi64ELi1EEEESF_SF_Li2ELi32ELi32ELb0ELi0ELi1ELi1ENSD_IJLi1ELi32ELi1ELi8EEEELi4ELNS_26BlockGemmPipelineSchedulerE0ELNS_24BlockGemmPipelineVersionE2ES6_S6_Lb0ELb0ELi0EEELb1ELNS_25InMemoryDataOperationEnumE0ELi1ELNS_10TailNumberE1EEEvNT_8ArgumentE.num_named_barrier, max(0, .L_ZNK2ck52BlockwiseGemmXdlops_pipeline_bpreshuffle_bdequant_v3ILNS_26BlockGemmPipelineSchedulerE0ELi256ENS_9f8_fnuz_tENS_7pk_i4_tES2_fNS_16TensorDescriptorINS_5TupleIJNS_5EmbedINS5_IJNS_17integral_constantIiLi8EEENS7_IiLi256EEENS7_IiLi16EEEEEENS5_IJSA_NS7_IiLi128EEENS7_IiLi1EEEEEELb0EEENS_3XorINS5_IJS9_S8_EEELb1EEENS_11PassThroughISA_EENS_7UnMergeINS5_IJS8_SD_EEELb0EEENSJ_IS9_EESK_NSJ_IS8_EENS_21Merge_v3_division_modINS5_IJS9_SD_EEEEESK_EEENS5_IJNS_8SequenceIJLi0EEEENSU_IJLi2ELi1EEEENSU_IJLi3EEEENSU_IJLi5EEEENSU_IJLi4EEEENSU_IJLi6EEEENSU_IJLi7EEEENSU_IJLi9ELi8EEEENSU_IJLi10EEEEEEENS5_IJNSU_IJLi1ELi2ELi3EEEENSU_IJLi4ELi5EEEES10_NSU_IJLi7ELi8EEEENSU_IJLi9EEEES13_NSU_IJLi11EEEENSU_IJLi12EEEENSU_IJLi13EEEEEEENSU_IJLi11ELi12ELi13EEEENS7_IlLl32768EEEEENS4_INS5_IJNSL_INS5_IJNS7_IiLi4EEESD_NS7_IiLi2EEENS7_IiLi32EEEEEELb0EEEEEENS5_IJSV_EEENS5_IJNSU_IJLi1ELi2ELi3ELi4EEEEEEES1N_NS7_IlLl256EEEEENS4_INS5_IJSF_SI_SK_SN_SO_SK_SP_SS_SK_NSQ_INS5_IJS8_SA_EEEEENSL_INS5_IJS8_S1H_SA_EEELb0EEEEEENS5_IJSV_SW_SX_SY_SZ_S10_S11_S12_S13_NSU_IJLi11ELi13EEEES1A_EEENS5_IJS15_S16_S10_S17_S18_S13_S19_S1A_S1B_NSU_IJLi14EEEENSU_IJLi15ELi16ELi17EEEEEEENSU_IJLi15ELi16ELi17ELi14EEEES1E_EENS4_INS5_IJS1K_NSQ_INS5_IJS1G_S1H_EEEEENSL_INS5_IJS1G_S1G_SA_EEELb0EEEEEENS5_IJSV_NSU_IJLi1ELi3EEEENSU_IJLi2EEEEEEENS5_IJS1N_SY_NSU_IJLi6ELi7ELi8EEEEEEENSU_IJLi6ELi7ELi8ELi5EEEES1P_EELi16ELi32ELi256ELi256ELi128ELi16ELi16ELi8ELi4ELi32ELb0EE3RunILb1ELNS_10TailNumberE1ENS4_INS5_IJNS6_INS5_IJiiEEENS5_IJiSD_EEELb0EEENSL_IS2I_Lb0EEENSJ_IiEEEEENS5_IJSV_S29_NSU_IJLi1EEEEEEENS5_IJNSU_IJLi1ELi2EEEENSU_IJLi3ELi4EEEESY_EEENSU_IJLi3ELi5ELi4EEEElEES1F_NS_35ThreadGroupTensorSliceTransfer_v4r1INS_15ThisThreadBlockILi256EEENS_16tensor_operation12element_wise11PassThroughES30_LNS_25InMemoryDataOperationEnumE0ENSU_IJLi8ELi256ELi16EEEENSU_IJLi8ELi32ELi1EEEENSU_IJLi1ELi0ELi2EEEES2_S2_RKS2U_KS1F_S34_NSU_IJLi0ELi1ELi2EEEELi2ELi2ELi16ELi16ELi1ELi1ELb0ELb1ELi2EiEENS_13DynamicBufferILNS_16AddressSpaceEnumE1EKS2_lLb1ELNS_22AmdBufferCoherenceEnumE0EiEENS5_IJNS3A_ILS3B_2ES2_S1E_Lb1ELS3D_0EiEES3F_EEENS5_IJiiiEEENS4_INS5_IJNS6_INS5_IJiiiiEEENS5_IJiiiSD_EEELb0EEEEEES1M_S1O_S1N_lEENS_32ThreadwiseTensorSliceTransfer_v2IS3_S3_RKS3M_KS1Q_NSU_IJLi4ELi1ELi2ELi32EEEENSU_IJLi1ELi2ELi0ELi3EEEELi3ELi32ELi0ELb1ELb0ELb0EEENS3A_ILS3B_1EKS3_lLb1ELS3D_0EiEENS5_IJNS_12StaticBufferILS3B_4ES3_Li256ELb1EEES3X_EEES3I_NS_25StaticBufferTupleOfVectorILS3B_4EfLi32ELi8ELb1ELb0EEEEEvRKT1_RKT2_RT3_RKT4_RT5_RKT6_RKT7_RT8_RKT9_RT10_RKT11_RT12_i.num_named_barrier)
	.set _ZN2ck45kernel_gemm_xdl_cshuffle_v3_b_preshuffle_2ldsINS_41GridwiseGemm_xdl_cshuffle_v3_b_preshuffleINS_13tensor_layout4gemm8RowMajorENS3_11ColumnMajorES4_NS_9f8_fnuz_tENS_7pk_i4_tEfDF16_DF16_NS_16tensor_operation12element_wise11PassThroughESA_SA_LNS8_6device18GemmSpecializationE0ELi256ELi256ELi256ELi128ELi16ELi32ELi16ELi16ELi8ELi4ENS_8SequenceIJLi8ELi32ELi1EEEENSD_IJLi1ELi0ELi2EEEESF_Li2ELi16ELi16ELb0ELi0ENSD_IJLi4ELi64ELi1EEEESF_SF_Li2ELi32ELi32ELb0ELi0ELi1ELi1ENSD_IJLi1ELi32ELi1ELi8EEEELi4ELNS_26BlockGemmPipelineSchedulerE0ELNS_24BlockGemmPipelineVersionE2ES6_S6_Lb0ELb0ELi0EEELb1ELNS_25InMemoryDataOperationEnumE0ELi1ELNS_10TailNumberE1EEEvNT_8ArgumentE.private_seg_size, 3360+max(.L_ZNK2ck52BlockwiseGemmXdlops_pipeline_bpreshuffle_bdequant_v3ILNS_26BlockGemmPipelineSchedulerE0ELi256ENS_9f8_fnuz_tENS_7pk_i4_tES2_fNS_16TensorDescriptorINS_5TupleIJNS_5EmbedINS5_IJNS_17integral_constantIiLi8EEENS7_IiLi256EEENS7_IiLi16EEEEEENS5_IJSA_NS7_IiLi128EEENS7_IiLi1EEEEEELb0EEENS_3XorINS5_IJS9_S8_EEELb1EEENS_11PassThroughISA_EENS_7UnMergeINS5_IJS8_SD_EEELb0EEENSJ_IS9_EESK_NSJ_IS8_EENS_21Merge_v3_division_modINS5_IJS9_SD_EEEEESK_EEENS5_IJNS_8SequenceIJLi0EEEENSU_IJLi2ELi1EEEENSU_IJLi3EEEENSU_IJLi5EEEENSU_IJLi4EEEENSU_IJLi6EEEENSU_IJLi7EEEENSU_IJLi9ELi8EEEENSU_IJLi10EEEEEEENS5_IJNSU_IJLi1ELi2ELi3EEEENSU_IJLi4ELi5EEEES10_NSU_IJLi7ELi8EEEENSU_IJLi9EEEES13_NSU_IJLi11EEEENSU_IJLi12EEEENSU_IJLi13EEEEEEENSU_IJLi11ELi12ELi13EEEENS7_IlLl32768EEEEENS4_INS5_IJNSL_INS5_IJNS7_IiLi4EEESD_NS7_IiLi2EEENS7_IiLi32EEEEEELb0EEEEEENS5_IJSV_EEENS5_IJNSU_IJLi1ELi2ELi3ELi4EEEEEEES1N_NS7_IlLl256EEEEENS4_INS5_IJSF_SI_SK_SN_SO_SK_SP_SS_SK_NSQ_INS5_IJS8_SA_EEEEENSL_INS5_IJS8_S1H_SA_EEELb0EEEEEENS5_IJSV_SW_SX_SY_SZ_S10_S11_S12_S13_NSU_IJLi11ELi13EEEES1A_EEENS5_IJS15_S16_S10_S17_S18_S13_S19_S1A_S1B_NSU_IJLi14EEEENSU_IJLi15ELi16ELi17EEEEEEENSU_IJLi15ELi16ELi17ELi14EEEES1E_EENS4_INS5_IJS1K_NSQ_INS5_IJS1G_S1H_EEEEENSL_INS5_IJS1G_S1G_SA_EEELb0EEEEEENS5_IJSV_NSU_IJLi1ELi3EEEENSU_IJLi2EEEEEEENS5_IJS1N_SY_NSU_IJLi6ELi7ELi8EEEEEEENSU_IJLi6ELi7ELi8ELi5EEEES1P_EELi16ELi32ELi256ELi256ELi128ELi16ELi16ELi8ELi4ELi32ELb0EE3RunILb1ELNS_10TailNumberE1ENS4_INS5_IJNS6_INS5_IJiiEEENS5_IJiSD_EEELb0EEENSL_IS2I_Lb0EEENSJ_IiEEEEENS5_IJSV_S29_NSU_IJLi1EEEEEEENS5_IJNSU_IJLi1ELi2EEEENSU_IJLi3ELi4EEEESY_EEENSU_IJLi3ELi5ELi4EEEElEES1F_NS_35ThreadGroupTensorSliceTransfer_v4r1INS_15ThisThreadBlockILi256EEENS_16tensor_operation12element_wise11PassThroughES30_LNS_25InMemoryDataOperationEnumE0ENSU_IJLi8ELi256ELi16EEEENSU_IJLi8ELi32ELi1EEEENSU_IJLi1ELi0ELi2EEEES2_S2_RKS2U_KS1F_S34_NSU_IJLi0ELi1ELi2EEEELi2ELi2ELi16ELi16ELi1ELi1ELb0ELb1ELi2EiEENS_13DynamicBufferILNS_16AddressSpaceEnumE1EKS2_lLb1ELNS_22AmdBufferCoherenceEnumE0EiEENS5_IJNS3A_ILS3B_2ES2_S1E_Lb1ELS3D_0EiEES3F_EEENS5_IJiiiEEENS4_INS5_IJNS6_INS5_IJiiiiEEENS5_IJiiiSD_EEELb0EEEEEES1M_S1O_S1N_lEENS_32ThreadwiseTensorSliceTransfer_v2IS3_S3_RKS3M_KS1Q_NSU_IJLi4ELi1ELi2ELi32EEEENSU_IJLi1ELi2ELi0ELi3EEEELi3ELi32ELi0ELb1ELb0ELb0EEENS3A_ILS3B_1EKS3_lLb1ELS3D_0EiEENS5_IJNS_12StaticBufferILS3B_4ES3_Li256ELb1EEES3X_EEES3I_NS_25StaticBufferTupleOfVectorILS3B_4EfLi32ELi8ELb1ELb0EEEEEvRKT1_RKT2_RT3_RKT4_RT5_RKT6_RKT7_RT8_RKT9_RT10_RKT11_RT12_i.private_seg_size)
	.set _ZN2ck45kernel_gemm_xdl_cshuffle_v3_b_preshuffle_2ldsINS_41GridwiseGemm_xdl_cshuffle_v3_b_preshuffleINS_13tensor_layout4gemm8RowMajorENS3_11ColumnMajorES4_NS_9f8_fnuz_tENS_7pk_i4_tEfDF16_DF16_NS_16tensor_operation12element_wise11PassThroughESA_SA_LNS8_6device18GemmSpecializationE0ELi256ELi256ELi256ELi128ELi16ELi32ELi16ELi16ELi8ELi4ENS_8SequenceIJLi8ELi32ELi1EEEENSD_IJLi1ELi0ELi2EEEESF_Li2ELi16ELi16ELb0ELi0ENSD_IJLi4ELi64ELi1EEEESF_SF_Li2ELi32ELi32ELb0ELi0ELi1ELi1ENSD_IJLi1ELi32ELi1ELi8EEEELi4ELNS_26BlockGemmPipelineSchedulerE0ELNS_24BlockGemmPipelineVersionE2ES6_S6_Lb0ELb0ELi0EEELb1ELNS_25InMemoryDataOperationEnumE0ELi1ELNS_10TailNumberE1EEEvNT_8ArgumentE.uses_vcc, or(1, .L_ZNK2ck52BlockwiseGemmXdlops_pipeline_bpreshuffle_bdequant_v3ILNS_26BlockGemmPipelineSchedulerE0ELi256ENS_9f8_fnuz_tENS_7pk_i4_tES2_fNS_16TensorDescriptorINS_5TupleIJNS_5EmbedINS5_IJNS_17integral_constantIiLi8EEENS7_IiLi256EEENS7_IiLi16EEEEEENS5_IJSA_NS7_IiLi128EEENS7_IiLi1EEEEEELb0EEENS_3XorINS5_IJS9_S8_EEELb1EEENS_11PassThroughISA_EENS_7UnMergeINS5_IJS8_SD_EEELb0EEENSJ_IS9_EESK_NSJ_IS8_EENS_21Merge_v3_division_modINS5_IJS9_SD_EEEEESK_EEENS5_IJNS_8SequenceIJLi0EEEENSU_IJLi2ELi1EEEENSU_IJLi3EEEENSU_IJLi5EEEENSU_IJLi4EEEENSU_IJLi6EEEENSU_IJLi7EEEENSU_IJLi9ELi8EEEENSU_IJLi10EEEEEEENS5_IJNSU_IJLi1ELi2ELi3EEEENSU_IJLi4ELi5EEEES10_NSU_IJLi7ELi8EEEENSU_IJLi9EEEES13_NSU_IJLi11EEEENSU_IJLi12EEEENSU_IJLi13EEEEEEENSU_IJLi11ELi12ELi13EEEENS7_IlLl32768EEEEENS4_INS5_IJNSL_INS5_IJNS7_IiLi4EEESD_NS7_IiLi2EEENS7_IiLi32EEEEEELb0EEEEEENS5_IJSV_EEENS5_IJNSU_IJLi1ELi2ELi3ELi4EEEEEEES1N_NS7_IlLl256EEEEENS4_INS5_IJSF_SI_SK_SN_SO_SK_SP_SS_SK_NSQ_INS5_IJS8_SA_EEEEENSL_INS5_IJS8_S1H_SA_EEELb0EEEEEENS5_IJSV_SW_SX_SY_SZ_S10_S11_S12_S13_NSU_IJLi11ELi13EEEES1A_EEENS5_IJS15_S16_S10_S17_S18_S13_S19_S1A_S1B_NSU_IJLi14EEEENSU_IJLi15ELi16ELi17EEEEEEENSU_IJLi15ELi16ELi17ELi14EEEES1E_EENS4_INS5_IJS1K_NSQ_INS5_IJS1G_S1H_EEEEENSL_INS5_IJS1G_S1G_SA_EEELb0EEEEEENS5_IJSV_NSU_IJLi1ELi3EEEENSU_IJLi2EEEEEEENS5_IJS1N_SY_NSU_IJLi6ELi7ELi8EEEEEEENSU_IJLi6ELi7ELi8ELi5EEEES1P_EELi16ELi32ELi256ELi256ELi128ELi16ELi16ELi8ELi4ELi32ELb0EE3RunILb1ELNS_10TailNumberE1ENS4_INS5_IJNS6_INS5_IJiiEEENS5_IJiSD_EEELb0EEENSL_IS2I_Lb0EEENSJ_IiEEEEENS5_IJSV_S29_NSU_IJLi1EEEEEEENS5_IJNSU_IJLi1ELi2EEEENSU_IJLi3ELi4EEEESY_EEENSU_IJLi3ELi5ELi4EEEElEES1F_NS_35ThreadGroupTensorSliceTransfer_v4r1INS_15ThisThreadBlockILi256EEENS_16tensor_operation12element_wise11PassThroughES30_LNS_25InMemoryDataOperationEnumE0ENSU_IJLi8ELi256ELi16EEEENSU_IJLi8ELi32ELi1EEEENSU_IJLi1ELi0ELi2EEEES2_S2_RKS2U_KS1F_S34_NSU_IJLi0ELi1ELi2EEEELi2ELi2ELi16ELi16ELi1ELi1ELb0ELb1ELi2EiEENS_13DynamicBufferILNS_16AddressSpaceEnumE1EKS2_lLb1ELNS_22AmdBufferCoherenceEnumE0EiEENS5_IJNS3A_ILS3B_2ES2_S1E_Lb1ELS3D_0EiEES3F_EEENS5_IJiiiEEENS4_INS5_IJNS6_INS5_IJiiiiEEENS5_IJiiiSD_EEELb0EEEEEES1M_S1O_S1N_lEENS_32ThreadwiseTensorSliceTransfer_v2IS3_S3_RKS3M_KS1Q_NSU_IJLi4ELi1ELi2ELi32EEEENSU_IJLi1ELi2ELi0ELi3EEEELi3ELi32ELi0ELb1ELb0ELb0EEENS3A_ILS3B_1EKS3_lLb1ELS3D_0EiEENS5_IJNS_12StaticBufferILS3B_4ES3_Li256ELb1EEES3X_EEES3I_NS_25StaticBufferTupleOfVectorILS3B_4EfLi32ELi8ELb1ELb0EEEEEvRKT1_RKT2_RT3_RKT4_RT5_RKT6_RKT7_RT8_RKT9_RT10_RKT11_RT12_i.uses_vcc)
	.set _ZN2ck45kernel_gemm_xdl_cshuffle_v3_b_preshuffle_2ldsINS_41GridwiseGemm_xdl_cshuffle_v3_b_preshuffleINS_13tensor_layout4gemm8RowMajorENS3_11ColumnMajorES4_NS_9f8_fnuz_tENS_7pk_i4_tEfDF16_DF16_NS_16tensor_operation12element_wise11PassThroughESA_SA_LNS8_6device18GemmSpecializationE0ELi256ELi256ELi256ELi128ELi16ELi32ELi16ELi16ELi8ELi4ENS_8SequenceIJLi8ELi32ELi1EEEENSD_IJLi1ELi0ELi2EEEESF_Li2ELi16ELi16ELb0ELi0ENSD_IJLi4ELi64ELi1EEEESF_SF_Li2ELi32ELi32ELb0ELi0ELi1ELi1ENSD_IJLi1ELi32ELi1ELi8EEEELi4ELNS_26BlockGemmPipelineSchedulerE0ELNS_24BlockGemmPipelineVersionE2ES6_S6_Lb0ELb0ELi0EEELb1ELNS_25InMemoryDataOperationEnumE0ELi1ELNS_10TailNumberE1EEEvNT_8ArgumentE.uses_flat_scratch, or(1, .L_ZNK2ck52BlockwiseGemmXdlops_pipeline_bpreshuffle_bdequant_v3ILNS_26BlockGemmPipelineSchedulerE0ELi256ENS_9f8_fnuz_tENS_7pk_i4_tES2_fNS_16TensorDescriptorINS_5TupleIJNS_5EmbedINS5_IJNS_17integral_constantIiLi8EEENS7_IiLi256EEENS7_IiLi16EEEEEENS5_IJSA_NS7_IiLi128EEENS7_IiLi1EEEEEELb0EEENS_3XorINS5_IJS9_S8_EEELb1EEENS_11PassThroughISA_EENS_7UnMergeINS5_IJS8_SD_EEELb0EEENSJ_IS9_EESK_NSJ_IS8_EENS_21Merge_v3_division_modINS5_IJS9_SD_EEEEESK_EEENS5_IJNS_8SequenceIJLi0EEEENSU_IJLi2ELi1EEEENSU_IJLi3EEEENSU_IJLi5EEEENSU_IJLi4EEEENSU_IJLi6EEEENSU_IJLi7EEEENSU_IJLi9ELi8EEEENSU_IJLi10EEEEEEENS5_IJNSU_IJLi1ELi2ELi3EEEENSU_IJLi4ELi5EEEES10_NSU_IJLi7ELi8EEEENSU_IJLi9EEEES13_NSU_IJLi11EEEENSU_IJLi12EEEENSU_IJLi13EEEEEEENSU_IJLi11ELi12ELi13EEEENS7_IlLl32768EEEEENS4_INS5_IJNSL_INS5_IJNS7_IiLi4EEESD_NS7_IiLi2EEENS7_IiLi32EEEEEELb0EEEEEENS5_IJSV_EEENS5_IJNSU_IJLi1ELi2ELi3ELi4EEEEEEES1N_NS7_IlLl256EEEEENS4_INS5_IJSF_SI_SK_SN_SO_SK_SP_SS_SK_NSQ_INS5_IJS8_SA_EEEEENSL_INS5_IJS8_S1H_SA_EEELb0EEEEEENS5_IJSV_SW_SX_SY_SZ_S10_S11_S12_S13_NSU_IJLi11ELi13EEEES1A_EEENS5_IJS15_S16_S10_S17_S18_S13_S19_S1A_S1B_NSU_IJLi14EEEENSU_IJLi15ELi16ELi17EEEEEEENSU_IJLi15ELi16ELi17ELi14EEEES1E_EENS4_INS5_IJS1K_NSQ_INS5_IJS1G_S1H_EEEEENSL_INS5_IJS1G_S1G_SA_EEELb0EEEEEENS5_IJSV_NSU_IJLi1ELi3EEEENSU_IJLi2EEEEEEENS5_IJS1N_SY_NSU_IJLi6ELi7ELi8EEEEEEENSU_IJLi6ELi7ELi8ELi5EEEES1P_EELi16ELi32ELi256ELi256ELi128ELi16ELi16ELi8ELi4ELi32ELb0EE3RunILb1ELNS_10TailNumberE1ENS4_INS5_IJNS6_INS5_IJiiEEENS5_IJiSD_EEELb0EEENSL_IS2I_Lb0EEENSJ_IiEEEEENS5_IJSV_S29_NSU_IJLi1EEEEEEENS5_IJNSU_IJLi1ELi2EEEENSU_IJLi3ELi4EEEESY_EEENSU_IJLi3ELi5ELi4EEEElEES1F_NS_35ThreadGroupTensorSliceTransfer_v4r1INS_15ThisThreadBlockILi256EEENS_16tensor_operation12element_wise11PassThroughES30_LNS_25InMemoryDataOperationEnumE0ENSU_IJLi8ELi256ELi16EEEENSU_IJLi8ELi32ELi1EEEENSU_IJLi1ELi0ELi2EEEES2_S2_RKS2U_KS1F_S34_NSU_IJLi0ELi1ELi2EEEELi2ELi2ELi16ELi16ELi1ELi1ELb0ELb1ELi2EiEENS_13DynamicBufferILNS_16AddressSpaceEnumE1EKS2_lLb1ELNS_22AmdBufferCoherenceEnumE0EiEENS5_IJNS3A_ILS3B_2ES2_S1E_Lb1ELS3D_0EiEES3F_EEENS5_IJiiiEEENS4_INS5_IJNS6_INS5_IJiiiiEEENS5_IJiiiSD_EEELb0EEEEEES1M_S1O_S1N_lEENS_32ThreadwiseTensorSliceTransfer_v2IS3_S3_RKS3M_KS1Q_NSU_IJLi4ELi1ELi2ELi32EEEENSU_IJLi1ELi2ELi0ELi3EEEELi3ELi32ELi0ELb1ELb0ELb0EEENS3A_ILS3B_1EKS3_lLb1ELS3D_0EiEENS5_IJNS_12StaticBufferILS3B_4ES3_Li256ELb1EEES3X_EEES3I_NS_25StaticBufferTupleOfVectorILS3B_4EfLi32ELi8ELb1ELb0EEEEEvRKT1_RKT2_RT3_RKT4_RT5_RKT6_RKT7_RT8_RKT9_RT10_RKT11_RT12_i.uses_flat_scratch)
	.set _ZN2ck45kernel_gemm_xdl_cshuffle_v3_b_preshuffle_2ldsINS_41GridwiseGemm_xdl_cshuffle_v3_b_preshuffleINS_13tensor_layout4gemm8RowMajorENS3_11ColumnMajorES4_NS_9f8_fnuz_tENS_7pk_i4_tEfDF16_DF16_NS_16tensor_operation12element_wise11PassThroughESA_SA_LNS8_6device18GemmSpecializationE0ELi256ELi256ELi256ELi128ELi16ELi32ELi16ELi16ELi8ELi4ENS_8SequenceIJLi8ELi32ELi1EEEENSD_IJLi1ELi0ELi2EEEESF_Li2ELi16ELi16ELb0ELi0ENSD_IJLi4ELi64ELi1EEEESF_SF_Li2ELi32ELi32ELb0ELi0ELi1ELi1ENSD_IJLi1ELi32ELi1ELi8EEEELi4ELNS_26BlockGemmPipelineSchedulerE0ELNS_24BlockGemmPipelineVersionE2ES6_S6_Lb0ELb0ELi0EEELb1ELNS_25InMemoryDataOperationEnumE0ELi1ELNS_10TailNumberE1EEEvNT_8ArgumentE.has_dyn_sized_stack, or(0, .L_ZNK2ck52BlockwiseGemmXdlops_pipeline_bpreshuffle_bdequant_v3ILNS_26BlockGemmPipelineSchedulerE0ELi256ENS_9f8_fnuz_tENS_7pk_i4_tES2_fNS_16TensorDescriptorINS_5TupleIJNS_5EmbedINS5_IJNS_17integral_constantIiLi8EEENS7_IiLi256EEENS7_IiLi16EEEEEENS5_IJSA_NS7_IiLi128EEENS7_IiLi1EEEEEELb0EEENS_3XorINS5_IJS9_S8_EEELb1EEENS_11PassThroughISA_EENS_7UnMergeINS5_IJS8_SD_EEELb0EEENSJ_IS9_EESK_NSJ_IS8_EENS_21Merge_v3_division_modINS5_IJS9_SD_EEEEESK_EEENS5_IJNS_8SequenceIJLi0EEEENSU_IJLi2ELi1EEEENSU_IJLi3EEEENSU_IJLi5EEEENSU_IJLi4EEEENSU_IJLi6EEEENSU_IJLi7EEEENSU_IJLi9ELi8EEEENSU_IJLi10EEEEEEENS5_IJNSU_IJLi1ELi2ELi3EEEENSU_IJLi4ELi5EEEES10_NSU_IJLi7ELi8EEEENSU_IJLi9EEEES13_NSU_IJLi11EEEENSU_IJLi12EEEENSU_IJLi13EEEEEEENSU_IJLi11ELi12ELi13EEEENS7_IlLl32768EEEEENS4_INS5_IJNSL_INS5_IJNS7_IiLi4EEESD_NS7_IiLi2EEENS7_IiLi32EEEEEELb0EEEEEENS5_IJSV_EEENS5_IJNSU_IJLi1ELi2ELi3ELi4EEEEEEES1N_NS7_IlLl256EEEEENS4_INS5_IJSF_SI_SK_SN_SO_SK_SP_SS_SK_NSQ_INS5_IJS8_SA_EEEEENSL_INS5_IJS8_S1H_SA_EEELb0EEEEEENS5_IJSV_SW_SX_SY_SZ_S10_S11_S12_S13_NSU_IJLi11ELi13EEEES1A_EEENS5_IJS15_S16_S10_S17_S18_S13_S19_S1A_S1B_NSU_IJLi14EEEENSU_IJLi15ELi16ELi17EEEEEEENSU_IJLi15ELi16ELi17ELi14EEEES1E_EENS4_INS5_IJS1K_NSQ_INS5_IJS1G_S1H_EEEEENSL_INS5_IJS1G_S1G_SA_EEELb0EEEEEENS5_IJSV_NSU_IJLi1ELi3EEEENSU_IJLi2EEEEEEENS5_IJS1N_SY_NSU_IJLi6ELi7ELi8EEEEEEENSU_IJLi6ELi7ELi8ELi5EEEES1P_EELi16ELi32ELi256ELi256ELi128ELi16ELi16ELi8ELi4ELi32ELb0EE3RunILb1ELNS_10TailNumberE1ENS4_INS5_IJNS6_INS5_IJiiEEENS5_IJiSD_EEELb0EEENSL_IS2I_Lb0EEENSJ_IiEEEEENS5_IJSV_S29_NSU_IJLi1EEEEEEENS5_IJNSU_IJLi1ELi2EEEENSU_IJLi3ELi4EEEESY_EEENSU_IJLi3ELi5ELi4EEEElEES1F_NS_35ThreadGroupTensorSliceTransfer_v4r1INS_15ThisThreadBlockILi256EEENS_16tensor_operation12element_wise11PassThroughES30_LNS_25InMemoryDataOperationEnumE0ENSU_IJLi8ELi256ELi16EEEENSU_IJLi8ELi32ELi1EEEENSU_IJLi1ELi0ELi2EEEES2_S2_RKS2U_KS1F_S34_NSU_IJLi0ELi1ELi2EEEELi2ELi2ELi16ELi16ELi1ELi1ELb0ELb1ELi2EiEENS_13DynamicBufferILNS_16AddressSpaceEnumE1EKS2_lLb1ELNS_22AmdBufferCoherenceEnumE0EiEENS5_IJNS3A_ILS3B_2ES2_S1E_Lb1ELS3D_0EiEES3F_EEENS5_IJiiiEEENS4_INS5_IJNS6_INS5_IJiiiiEEENS5_IJiiiSD_EEELb0EEEEEES1M_S1O_S1N_lEENS_32ThreadwiseTensorSliceTransfer_v2IS3_S3_RKS3M_KS1Q_NSU_IJLi4ELi1ELi2ELi32EEEENSU_IJLi1ELi2ELi0ELi3EEEELi3ELi32ELi0ELb1ELb0ELb0EEENS3A_ILS3B_1EKS3_lLb1ELS3D_0EiEENS5_IJNS_12StaticBufferILS3B_4ES3_Li256ELb1EEES3X_EEES3I_NS_25StaticBufferTupleOfVectorILS3B_4EfLi32ELi8ELb1ELb0EEEEEvRKT1_RKT2_RT3_RKT4_RT5_RKT6_RKT7_RT8_RKT9_RT10_RKT11_RT12_i.has_dyn_sized_stack)
	.set _ZN2ck45kernel_gemm_xdl_cshuffle_v3_b_preshuffle_2ldsINS_41GridwiseGemm_xdl_cshuffle_v3_b_preshuffleINS_13tensor_layout4gemm8RowMajorENS3_11ColumnMajorES4_NS_9f8_fnuz_tENS_7pk_i4_tEfDF16_DF16_NS_16tensor_operation12element_wise11PassThroughESA_SA_LNS8_6device18GemmSpecializationE0ELi256ELi256ELi256ELi128ELi16ELi32ELi16ELi16ELi8ELi4ENS_8SequenceIJLi8ELi32ELi1EEEENSD_IJLi1ELi0ELi2EEEESF_Li2ELi16ELi16ELb0ELi0ENSD_IJLi4ELi64ELi1EEEESF_SF_Li2ELi32ELi32ELb0ELi0ELi1ELi1ENSD_IJLi1ELi32ELi1ELi8EEEELi4ELNS_26BlockGemmPipelineSchedulerE0ELNS_24BlockGemmPipelineVersionE2ES6_S6_Lb0ELb0ELi0EEELb1ELNS_25InMemoryDataOperationEnumE0ELi1ELNS_10TailNumberE1EEEvNT_8ArgumentE.has_recursion, or(0, .L_ZNK2ck52BlockwiseGemmXdlops_pipeline_bpreshuffle_bdequant_v3ILNS_26BlockGemmPipelineSchedulerE0ELi256ENS_9f8_fnuz_tENS_7pk_i4_tES2_fNS_16TensorDescriptorINS_5TupleIJNS_5EmbedINS5_IJNS_17integral_constantIiLi8EEENS7_IiLi256EEENS7_IiLi16EEEEEENS5_IJSA_NS7_IiLi128EEENS7_IiLi1EEEEEELb0EEENS_3XorINS5_IJS9_S8_EEELb1EEENS_11PassThroughISA_EENS_7UnMergeINS5_IJS8_SD_EEELb0EEENSJ_IS9_EESK_NSJ_IS8_EENS_21Merge_v3_division_modINS5_IJS9_SD_EEEEESK_EEENS5_IJNS_8SequenceIJLi0EEEENSU_IJLi2ELi1EEEENSU_IJLi3EEEENSU_IJLi5EEEENSU_IJLi4EEEENSU_IJLi6EEEENSU_IJLi7EEEENSU_IJLi9ELi8EEEENSU_IJLi10EEEEEEENS5_IJNSU_IJLi1ELi2ELi3EEEENSU_IJLi4ELi5EEEES10_NSU_IJLi7ELi8EEEENSU_IJLi9EEEES13_NSU_IJLi11EEEENSU_IJLi12EEEENSU_IJLi13EEEEEEENSU_IJLi11ELi12ELi13EEEENS7_IlLl32768EEEEENS4_INS5_IJNSL_INS5_IJNS7_IiLi4EEESD_NS7_IiLi2EEENS7_IiLi32EEEEEELb0EEEEEENS5_IJSV_EEENS5_IJNSU_IJLi1ELi2ELi3ELi4EEEEEEES1N_NS7_IlLl256EEEEENS4_INS5_IJSF_SI_SK_SN_SO_SK_SP_SS_SK_NSQ_INS5_IJS8_SA_EEEEENSL_INS5_IJS8_S1H_SA_EEELb0EEEEEENS5_IJSV_SW_SX_SY_SZ_S10_S11_S12_S13_NSU_IJLi11ELi13EEEES1A_EEENS5_IJS15_S16_S10_S17_S18_S13_S19_S1A_S1B_NSU_IJLi14EEEENSU_IJLi15ELi16ELi17EEEEEEENSU_IJLi15ELi16ELi17ELi14EEEES1E_EENS4_INS5_IJS1K_NSQ_INS5_IJS1G_S1H_EEEEENSL_INS5_IJS1G_S1G_SA_EEELb0EEEEEENS5_IJSV_NSU_IJLi1ELi3EEEENSU_IJLi2EEEEEEENS5_IJS1N_SY_NSU_IJLi6ELi7ELi8EEEEEEENSU_IJLi6ELi7ELi8ELi5EEEES1P_EELi16ELi32ELi256ELi256ELi128ELi16ELi16ELi8ELi4ELi32ELb0EE3RunILb1ELNS_10TailNumberE1ENS4_INS5_IJNS6_INS5_IJiiEEENS5_IJiSD_EEELb0EEENSL_IS2I_Lb0EEENSJ_IiEEEEENS5_IJSV_S29_NSU_IJLi1EEEEEEENS5_IJNSU_IJLi1ELi2EEEENSU_IJLi3ELi4EEEESY_EEENSU_IJLi3ELi5ELi4EEEElEES1F_NS_35ThreadGroupTensorSliceTransfer_v4r1INS_15ThisThreadBlockILi256EEENS_16tensor_operation12element_wise11PassThroughES30_LNS_25InMemoryDataOperationEnumE0ENSU_IJLi8ELi256ELi16EEEENSU_IJLi8ELi32ELi1EEEENSU_IJLi1ELi0ELi2EEEES2_S2_RKS2U_KS1F_S34_NSU_IJLi0ELi1ELi2EEEELi2ELi2ELi16ELi16ELi1ELi1ELb0ELb1ELi2EiEENS_13DynamicBufferILNS_16AddressSpaceEnumE1EKS2_lLb1ELNS_22AmdBufferCoherenceEnumE0EiEENS5_IJNS3A_ILS3B_2ES2_S1E_Lb1ELS3D_0EiEES3F_EEENS5_IJiiiEEENS4_INS5_IJNS6_INS5_IJiiiiEEENS5_IJiiiSD_EEELb0EEEEEES1M_S1O_S1N_lEENS_32ThreadwiseTensorSliceTransfer_v2IS3_S3_RKS3M_KS1Q_NSU_IJLi4ELi1ELi2ELi32EEEENSU_IJLi1ELi2ELi0ELi3EEEELi3ELi32ELi0ELb1ELb0ELb0EEENS3A_ILS3B_1EKS3_lLb1ELS3D_0EiEENS5_IJNS_12StaticBufferILS3B_4ES3_Li256ELb1EEES3X_EEES3I_NS_25StaticBufferTupleOfVectorILS3B_4EfLi32ELi8ELb1ELb0EEEEEvRKT1_RKT2_RT3_RKT4_RT5_RKT6_RKT7_RT8_RKT9_RT10_RKT11_RT12_i.has_recursion)
	.set _ZN2ck45kernel_gemm_xdl_cshuffle_v3_b_preshuffle_2ldsINS_41GridwiseGemm_xdl_cshuffle_v3_b_preshuffleINS_13tensor_layout4gemm8RowMajorENS3_11ColumnMajorES4_NS_9f8_fnuz_tENS_7pk_i4_tEfDF16_DF16_NS_16tensor_operation12element_wise11PassThroughESA_SA_LNS8_6device18GemmSpecializationE0ELi256ELi256ELi256ELi128ELi16ELi32ELi16ELi16ELi8ELi4ENS_8SequenceIJLi8ELi32ELi1EEEENSD_IJLi1ELi0ELi2EEEESF_Li2ELi16ELi16ELb0ELi0ENSD_IJLi4ELi64ELi1EEEESF_SF_Li2ELi32ELi32ELb0ELi0ELi1ELi1ENSD_IJLi1ELi32ELi1ELi8EEEELi4ELNS_26BlockGemmPipelineSchedulerE0ELNS_24BlockGemmPipelineVersionE2ES6_S6_Lb0ELb0ELi0EEELb1ELNS_25InMemoryDataOperationEnumE0ELi1ELNS_10TailNumberE1EEEvNT_8ArgumentE.has_indirect_call, or(0, .L_ZNK2ck52BlockwiseGemmXdlops_pipeline_bpreshuffle_bdequant_v3ILNS_26BlockGemmPipelineSchedulerE0ELi256ENS_9f8_fnuz_tENS_7pk_i4_tES2_fNS_16TensorDescriptorINS_5TupleIJNS_5EmbedINS5_IJNS_17integral_constantIiLi8EEENS7_IiLi256EEENS7_IiLi16EEEEEENS5_IJSA_NS7_IiLi128EEENS7_IiLi1EEEEEELb0EEENS_3XorINS5_IJS9_S8_EEELb1EEENS_11PassThroughISA_EENS_7UnMergeINS5_IJS8_SD_EEELb0EEENSJ_IS9_EESK_NSJ_IS8_EENS_21Merge_v3_division_modINS5_IJS9_SD_EEEEESK_EEENS5_IJNS_8SequenceIJLi0EEEENSU_IJLi2ELi1EEEENSU_IJLi3EEEENSU_IJLi5EEEENSU_IJLi4EEEENSU_IJLi6EEEENSU_IJLi7EEEENSU_IJLi9ELi8EEEENSU_IJLi10EEEEEEENS5_IJNSU_IJLi1ELi2ELi3EEEENSU_IJLi4ELi5EEEES10_NSU_IJLi7ELi8EEEENSU_IJLi9EEEES13_NSU_IJLi11EEEENSU_IJLi12EEEENSU_IJLi13EEEEEEENSU_IJLi11ELi12ELi13EEEENS7_IlLl32768EEEEENS4_INS5_IJNSL_INS5_IJNS7_IiLi4EEESD_NS7_IiLi2EEENS7_IiLi32EEEEEELb0EEEEEENS5_IJSV_EEENS5_IJNSU_IJLi1ELi2ELi3ELi4EEEEEEES1N_NS7_IlLl256EEEEENS4_INS5_IJSF_SI_SK_SN_SO_SK_SP_SS_SK_NSQ_INS5_IJS8_SA_EEEEENSL_INS5_IJS8_S1H_SA_EEELb0EEEEEENS5_IJSV_SW_SX_SY_SZ_S10_S11_S12_S13_NSU_IJLi11ELi13EEEES1A_EEENS5_IJS15_S16_S10_S17_S18_S13_S19_S1A_S1B_NSU_IJLi14EEEENSU_IJLi15ELi16ELi17EEEEEEENSU_IJLi15ELi16ELi17ELi14EEEES1E_EENS4_INS5_IJS1K_NSQ_INS5_IJS1G_S1H_EEEEENSL_INS5_IJS1G_S1G_SA_EEELb0EEEEEENS5_IJSV_NSU_IJLi1ELi3EEEENSU_IJLi2EEEEEEENS5_IJS1N_SY_NSU_IJLi6ELi7ELi8EEEEEEENSU_IJLi6ELi7ELi8ELi5EEEES1P_EELi16ELi32ELi256ELi256ELi128ELi16ELi16ELi8ELi4ELi32ELb0EE3RunILb1ELNS_10TailNumberE1ENS4_INS5_IJNS6_INS5_IJiiEEENS5_IJiSD_EEELb0EEENSL_IS2I_Lb0EEENSJ_IiEEEEENS5_IJSV_S29_NSU_IJLi1EEEEEEENS5_IJNSU_IJLi1ELi2EEEENSU_IJLi3ELi4EEEESY_EEENSU_IJLi3ELi5ELi4EEEElEES1F_NS_35ThreadGroupTensorSliceTransfer_v4r1INS_15ThisThreadBlockILi256EEENS_16tensor_operation12element_wise11PassThroughES30_LNS_25InMemoryDataOperationEnumE0ENSU_IJLi8ELi256ELi16EEEENSU_IJLi8ELi32ELi1EEEENSU_IJLi1ELi0ELi2EEEES2_S2_RKS2U_KS1F_S34_NSU_IJLi0ELi1ELi2EEEELi2ELi2ELi16ELi16ELi1ELi1ELb0ELb1ELi2EiEENS_13DynamicBufferILNS_16AddressSpaceEnumE1EKS2_lLb1ELNS_22AmdBufferCoherenceEnumE0EiEENS5_IJNS3A_ILS3B_2ES2_S1E_Lb1ELS3D_0EiEES3F_EEENS5_IJiiiEEENS4_INS5_IJNS6_INS5_IJiiiiEEENS5_IJiiiSD_EEELb0EEEEEES1M_S1O_S1N_lEENS_32ThreadwiseTensorSliceTransfer_v2IS3_S3_RKS3M_KS1Q_NSU_IJLi4ELi1ELi2ELi32EEEENSU_IJLi1ELi2ELi0ELi3EEEELi3ELi32ELi0ELb1ELb0ELb0EEENS3A_ILS3B_1EKS3_lLb1ELS3D_0EiEENS5_IJNS_12StaticBufferILS3B_4ES3_Li256ELb1EEES3X_EEES3I_NS_25StaticBufferTupleOfVectorILS3B_4EfLi32ELi8ELb1ELb0EEEEEvRKT1_RKT2_RT3_RKT4_RT5_RKT6_RKT7_RT8_RKT9_RT10_RKT11_RT12_i.has_indirect_call)
	.section	.AMDGPU.csdata,"",@progbits
; Kernel info:
; codeLenInByte = 12296
; TotalNumSgprs: 36
; NumVgprs: 152
; ScratchSize: 4400
; MemoryBound: 0
; FloatMode: 240
; IeeeMode: 1
; LDSByteSize: 65536 bytes/workgroup (compile time only)
; SGPRBlocks: 0
; VGPRBlocks: 30
; NumSGPRsForWavesPerEU: 36
; NumVGPRsForWavesPerEU: 241
; Occupancy: 4
; WaveLimiterHint : 1
; COMPUTE_PGM_RSRC2:SCRATCH_EN: 1
; COMPUTE_PGM_RSRC2:USER_SGPR: 2
; COMPUTE_PGM_RSRC2:TRAP_HANDLER: 0
; COMPUTE_PGM_RSRC2:TGID_X_EN: 1
; COMPUTE_PGM_RSRC2:TGID_Y_EN: 0
; COMPUTE_PGM_RSRC2:TGID_Z_EN: 1
; COMPUTE_PGM_RSRC2:TIDIG_COMP_CNT: 0
	.text
	.p2alignl 7, 3214868480
	.fill 96, 4, 3214868480
	.section	.AMDGPU.gpr_maximums,"",@progbits
	.set amdgpu.max_num_vgpr, 152
	.set amdgpu.max_num_agpr, 0
	.set amdgpu.max_num_sgpr, 34
	.text
	.protected	_ZN2ck41GridwiseGemm_xdl_cshuffle_v3_b_preshuffleINS_13tensor_layout4gemm8RowMajorENS2_11ColumnMajorES3_NS_9f8_fnuz_tENS_7pk_i4_tEfDF16_DF16_NS_16tensor_operation12element_wise11PassThroughES9_S9_LNS7_6device18GemmSpecializationE0ELi256ELi256ELi256ELi128ELi16ELi32ELi16ELi16ELi8ELi4ENS_8SequenceIJLi8ELi32ELi1EEEENSC_IJLi1ELi0ELi2EEEESE_Li2ELi16ELi16ELb0ELi0ENSC_IJLi4ELi64ELi1EEEESE_SE_Li2ELi32ELi32ELb0ELi0ELi1ELi1ENSC_IJLi1ELi32ELi1ELi8EEEELi4ELNS_26BlockGemmPipelineSchedulerE0ELNS_24BlockGemmPipelineVersionE2ES5_S5_Lb0ELb0ELi0EE5NWaveE ; @_ZN2ck41GridwiseGemm_xdl_cshuffle_v3_b_preshuffleINS_13tensor_layout4gemm8RowMajorENS2_11ColumnMajorES3_NS_9f8_fnuz_tENS_7pk_i4_tEfDF16_DF16_NS_16tensor_operation12element_wise11PassThroughES9_S9_LNS7_6device18GemmSpecializationE0ELi256ELi256ELi256ELi128ELi16ELi32ELi16ELi16ELi8ELi4ENS_8SequenceIJLi8ELi32ELi1EEEENSC_IJLi1ELi0ELi2EEEESE_Li2ELi16ELi16ELb0ELi0ENSC_IJLi4ELi64ELi1EEEESE_SE_Li2ELi32ELi32ELb0ELi0ELi1ELi1ENSC_IJLi1ELi32ELi1ELi8EEEELi4ELNS_26BlockGemmPipelineSchedulerE0ELNS_24BlockGemmPipelineVersionE2ES5_S5_Lb0ELb0ELi0EE5NWaveE
	.type	_ZN2ck41GridwiseGemm_xdl_cshuffle_v3_b_preshuffleINS_13tensor_layout4gemm8RowMajorENS2_11ColumnMajorES3_NS_9f8_fnuz_tENS_7pk_i4_tEfDF16_DF16_NS_16tensor_operation12element_wise11PassThroughES9_S9_LNS7_6device18GemmSpecializationE0ELi256ELi256ELi256ELi128ELi16ELi32ELi16ELi16ELi8ELi4ENS_8SequenceIJLi8ELi32ELi1EEEENSC_IJLi1ELi0ELi2EEEESE_Li2ELi16ELi16ELb0ELi0ENSC_IJLi4ELi64ELi1EEEESE_SE_Li2ELi32ELi32ELb0ELi0ELi1ELi1ENSC_IJLi1ELi32ELi1ELi8EEEELi4ELNS_26BlockGemmPipelineSchedulerE0ELNS_24BlockGemmPipelineVersionE2ES5_S5_Lb0ELb0ELi0EE5NWaveE,@object
	.section	.rodata._ZN2ck41GridwiseGemm_xdl_cshuffle_v3_b_preshuffleINS_13tensor_layout4gemm8RowMajorENS2_11ColumnMajorES3_NS_9f8_fnuz_tENS_7pk_i4_tEfDF16_DF16_NS_16tensor_operation12element_wise11PassThroughES9_S9_LNS7_6device18GemmSpecializationE0ELi256ELi256ELi256ELi128ELi16ELi32ELi16ELi16ELi8ELi4ENS_8SequenceIJLi8ELi32ELi1EEEENSC_IJLi1ELi0ELi2EEEESE_Li2ELi16ELi16ELb0ELi0ENSC_IJLi4ELi64ELi1EEEESE_SE_Li2ELi32ELi32ELb0ELi0ELi1ELi1ENSC_IJLi1ELi32ELi1ELi8EEEELi4ELNS_26BlockGemmPipelineSchedulerE0ELNS_24BlockGemmPipelineVersionE2ES5_S5_Lb0ELb0ELi0EE5NWaveE,"aG",@progbits,_ZN2ck41GridwiseGemm_xdl_cshuffle_v3_b_preshuffleINS_13tensor_layout4gemm8RowMajorENS2_11ColumnMajorES3_NS_9f8_fnuz_tENS_7pk_i4_tEfDF16_DF16_NS_16tensor_operation12element_wise11PassThroughES9_S9_LNS7_6device18GemmSpecializationE0ELi256ELi256ELi256ELi128ELi16ELi32ELi16ELi16ELi8ELi4ENS_8SequenceIJLi8ELi32ELi1EEEENSC_IJLi1ELi0ELi2EEEESE_Li2ELi16ELi16ELb0ELi0ENSC_IJLi4ELi64ELi1EEEESE_SE_Li2ELi32ELi32ELb0ELi0ELi1ELi1ENSC_IJLi1ELi32ELi1ELi8EEEELi4ELNS_26BlockGemmPipelineSchedulerE0ELNS_24BlockGemmPipelineVersionE2ES5_S5_Lb0ELb0ELi0EE5NWaveE,comdat
	.weak	_ZN2ck41GridwiseGemm_xdl_cshuffle_v3_b_preshuffleINS_13tensor_layout4gemm8RowMajorENS2_11ColumnMajorES3_NS_9f8_fnuz_tENS_7pk_i4_tEfDF16_DF16_NS_16tensor_operation12element_wise11PassThroughES9_S9_LNS7_6device18GemmSpecializationE0ELi256ELi256ELi256ELi128ELi16ELi32ELi16ELi16ELi8ELi4ENS_8SequenceIJLi8ELi32ELi1EEEENSC_IJLi1ELi0ELi2EEEESE_Li2ELi16ELi16ELb0ELi0ENSC_IJLi4ELi64ELi1EEEESE_SE_Li2ELi32ELi32ELb0ELi0ELi1ELi1ENSC_IJLi1ELi32ELi1ELi8EEEELi4ELNS_26BlockGemmPipelineSchedulerE0ELNS_24BlockGemmPipelineVersionE2ES5_S5_Lb0ELb0ELi0EE5NWaveE
	.p2align	2, 0x0
_ZN2ck41GridwiseGemm_xdl_cshuffle_v3_b_preshuffleINS_13tensor_layout4gemm8RowMajorENS2_11ColumnMajorES3_NS_9f8_fnuz_tENS_7pk_i4_tEfDF16_DF16_NS_16tensor_operation12element_wise11PassThroughES9_S9_LNS7_6device18GemmSpecializationE0ELi256ELi256ELi256ELi128ELi16ELi32ELi16ELi16ELi8ELi4ENS_8SequenceIJLi8ELi32ELi1EEEENSC_IJLi1ELi0ELi2EEEESE_Li2ELi16ELi16ELb0ELi0ENSC_IJLi4ELi64ELi1EEEESE_SE_Li2ELi32ELi32ELb0ELi0ELi1ELi1ENSC_IJLi1ELi32ELi1ELi8EEEELi4ELNS_26BlockGemmPipelineSchedulerE0ELNS_24BlockGemmPipelineVersionE2ES5_S5_Lb0ELb0ELi0EE5NWaveE:
	.long	4                               ; 0x4
	.size	_ZN2ck41GridwiseGemm_xdl_cshuffle_v3_b_preshuffleINS_13tensor_layout4gemm8RowMajorENS2_11ColumnMajorES3_NS_9f8_fnuz_tENS_7pk_i4_tEfDF16_DF16_NS_16tensor_operation12element_wise11PassThroughES9_S9_LNS7_6device18GemmSpecializationE0ELi256ELi256ELi256ELi128ELi16ELi32ELi16ELi16ELi8ELi4ENS_8SequenceIJLi8ELi32ELi1EEEENSC_IJLi1ELi0ELi2EEEESE_Li2ELi16ELi16ELb0ELi0ENSC_IJLi4ELi64ELi1EEEESE_SE_Li2ELi32ELi32ELb0ELi0ELi1ELi1ENSC_IJLi1ELi32ELi1ELi8EEEELi4ELNS_26BlockGemmPipelineSchedulerE0ELNS_24BlockGemmPipelineVersionE2ES5_S5_Lb0ELb0ELi0EE5NWaveE, 4

	.type	__const._ZN2ck41GridwiseGemm_xdl_cshuffle_v3_b_preshuffleINS_13tensor_layout4gemm8RowMajorENS2_11ColumnMajorES3_NS_9f8_fnuz_tENS_7pk_i4_tEfDF16_DF16_NS_16tensor_operation12element_wise11PassThroughES9_S9_LNS7_6device18GemmSpecializationE0ELi256ELi256ELi256ELi128ELi16ELi32ELi16ELi16ELi8ELi4ENS_8SequenceIJLi8ELi32ELi1EEEENSC_IJLi1ELi0ELi2EEEESE_Li2ELi16ELi16ELb0ELi0ENSC_IJLi4ELi64ELi1EEEESE_SE_Li2ELi32ELi32ELb0ELi0ELi1ELi1ENSC_IJLi1ELi32ELi1ELi8EEEELi4ELNS_26BlockGemmPipelineSchedulerE0ELNS_24BlockGemmPipelineVersionE2ES5_S5_Lb0ELb0ELi0EE8Run_2LdsIKNS_16TensorDescriptorINS_5TupleIJNS_5EmbedINSM_IJiiEEENSM_IJiNS_17integral_constantIiLi1EEEEEELb0EEENS_7UnMergeISO_Lb0EEENS_11PassThroughIiEEEEENSM_IJNSC_IJLi0EEEENSC_IJLi2EEEENSC_IJLi1EEEEEEENSM_IJNSC_IJLi1ELi2EEEENSC_IJLi3ELi4EEEENSC_IJLi5EEEEEEENSC_IJLi3ELi5ELi4EEEElEEKNSL_INSM_IJNSN_INSM_IJiiiiEEENSM_IJiiiSQ_EEELb0EEEEEENSM_IJSY_EEENSM_IJNSC_IJLi1ELi2ELi3ELi4EEEEEEES1E_lEEKNSL_INSM_IJSS_NS_8RightPadIiiLb0EEES1J_NST_INSM_IJiNSP_IiLi256EEEEEELb0EEES1M_EEENSM_IJSY_S10_SZ_NSC_IJLi3EEEENSC_IJLi4EEEEEEENSM_IJS12_S1O_S1P_NSC_IJLi5ELi6EEEENSC_IJLi7ELi8EEEEEEENSC_IJLi5ELi6ELi7ELi8EEEElEELb1ELNS_25InMemoryDataOperationEnumE1ELNS_10TailNumberE0EEEvPKS5_PKS6_PDF16_PvS24_RKNSJ_7ProblemERKT_RKT0_RKT1_i.a_block_slice_copy_step,@object ; @__const._ZN2ck41GridwiseGemm_xdl_cshuffle_v3_b_preshuffleINS_13tensor_layout4gemm8RowMajorENS2_11ColumnMajorES3_NS_9f8_fnuz_tENS_7pk_i4_tEfDF16_DF16_NS_16tensor_operation12element_wise11PassThroughES9_S9_LNS7_6device18GemmSpecializationE0ELi256ELi256ELi256ELi128ELi16ELi32ELi16ELi16ELi8ELi4ENS_8SequenceIJLi8ELi32ELi1EEEENSC_IJLi1ELi0ELi2EEEESE_Li2ELi16ELi16ELb0ELi0ENSC_IJLi4ELi64ELi1EEEESE_SE_Li2ELi32ELi32ELb0ELi0ELi1ELi1ENSC_IJLi1ELi32ELi1ELi8EEEELi4ELNS_26BlockGemmPipelineSchedulerE0ELNS_24BlockGemmPipelineVersionE2ES5_S5_Lb0ELb0ELi0EE8Run_2LdsIKNS_16TensorDescriptorINS_5TupleIJNS_5EmbedINSM_IJiiEEENSM_IJiNS_17integral_constantIiLi1EEEEEELb0EEENS_7UnMergeISO_Lb0EEENS_11PassThroughIiEEEEENSM_IJNSC_IJLi0EEEENSC_IJLi2EEEENSC_IJLi1EEEEEEENSM_IJNSC_IJLi1ELi2EEEENSC_IJLi3ELi4EEEENSC_IJLi5EEEEEEENSC_IJLi3ELi5ELi4EEEElEEKNSL_INSM_IJNSN_INSM_IJiiiiEEENSM_IJiiiSQ_EEELb0EEEEEENSM_IJSY_EEENSM_IJNSC_IJLi1ELi2ELi3ELi4EEEEEEES1E_lEEKNSL_INSM_IJSS_NS_8RightPadIiiLb0EEES1J_NST_INSM_IJiNSP_IiLi256EEEEEELb0EEES1M_EEENSM_IJSY_S10_SZ_NSC_IJLi3EEEENSC_IJLi4EEEEEEENSM_IJS12_S1O_S1P_NSC_IJLi5ELi6EEEENSC_IJLi7ELi8EEEEEEENSC_IJLi5ELi6ELi7ELi8EEEElEELb1ELNS_25InMemoryDataOperationEnumE1ELNS_10TailNumberE0EEEvPKS5_PKS6_PDF16_PvS24_RKNSJ_7ProblemERKT_RKT0_RKT1_i.a_block_slice_copy_step
	.section	.rodata,"a",@progbits
	.p2align	2, 0x0
__const._ZN2ck41GridwiseGemm_xdl_cshuffle_v3_b_preshuffleINS_13tensor_layout4gemm8RowMajorENS2_11ColumnMajorES3_NS_9f8_fnuz_tENS_7pk_i4_tEfDF16_DF16_NS_16tensor_operation12element_wise11PassThroughES9_S9_LNS7_6device18GemmSpecializationE0ELi256ELi256ELi256ELi128ELi16ELi32ELi16ELi16ELi8ELi4ENS_8SequenceIJLi8ELi32ELi1EEEENSC_IJLi1ELi0ELi2EEEESE_Li2ELi16ELi16ELb0ELi0ENSC_IJLi4ELi64ELi1EEEESE_SE_Li2ELi32ELi32ELb0ELi0ELi1ELi1ENSC_IJLi1ELi32ELi1ELi8EEEELi4ELNS_26BlockGemmPipelineSchedulerE0ELNS_24BlockGemmPipelineVersionE2ES5_S5_Lb0ELb0ELi0EE8Run_2LdsIKNS_16TensorDescriptorINS_5TupleIJNS_5EmbedINSM_IJiiEEENSM_IJiNS_17integral_constantIiLi1EEEEEELb0EEENS_7UnMergeISO_Lb0EEENS_11PassThroughIiEEEEENSM_IJNSC_IJLi0EEEENSC_IJLi2EEEENSC_IJLi1EEEEEEENSM_IJNSC_IJLi1ELi2EEEENSC_IJLi3ELi4EEEENSC_IJLi5EEEEEEENSC_IJLi3ELi5ELi4EEEElEEKNSL_INSM_IJNSN_INSM_IJiiiiEEENSM_IJiiiSQ_EEELb0EEEEEENSM_IJSY_EEENSM_IJNSC_IJLi1ELi2ELi3ELi4EEEEEEES1E_lEEKNSL_INSM_IJSS_NS_8RightPadIiiLb0EEES1J_NST_INSM_IJiNSP_IiLi256EEEEEELb0EEES1M_EEENSM_IJSY_S10_SZ_NSC_IJLi3EEEENSC_IJLi4EEEEEEENSM_IJS12_S1O_S1P_NSC_IJLi5ELi6EEEENSC_IJLi7ELi8EEEEEEENSC_IJLi5ELi6ELi7ELi8EEEElEELb1ELNS_25InMemoryDataOperationEnumE1ELNS_10TailNumberE0EEEvPKS5_PKS6_PDF16_PvS24_RKNSJ_7ProblemERKT_RKT0_RKT1_i.a_block_slice_copy_step:
	.long	8                               ; 0x8
	.long	0                               ; 0x0
	;; [unrolled: 1-line block ×3, first 2 shown]
	.size	__const._ZN2ck41GridwiseGemm_xdl_cshuffle_v3_b_preshuffleINS_13tensor_layout4gemm8RowMajorENS2_11ColumnMajorES3_NS_9f8_fnuz_tENS_7pk_i4_tEfDF16_DF16_NS_16tensor_operation12element_wise11PassThroughES9_S9_LNS7_6device18GemmSpecializationE0ELi256ELi256ELi256ELi128ELi16ELi32ELi16ELi16ELi8ELi4ENS_8SequenceIJLi8ELi32ELi1EEEENSC_IJLi1ELi0ELi2EEEESE_Li2ELi16ELi16ELb0ELi0ENSC_IJLi4ELi64ELi1EEEESE_SE_Li2ELi32ELi32ELb0ELi0ELi1ELi1ENSC_IJLi1ELi32ELi1ELi8EEEELi4ELNS_26BlockGemmPipelineSchedulerE0ELNS_24BlockGemmPipelineVersionE2ES5_S5_Lb0ELb0ELi0EE8Run_2LdsIKNS_16TensorDescriptorINS_5TupleIJNS_5EmbedINSM_IJiiEEENSM_IJiNS_17integral_constantIiLi1EEEEEELb0EEENS_7UnMergeISO_Lb0EEENS_11PassThroughIiEEEEENSM_IJNSC_IJLi0EEEENSC_IJLi2EEEENSC_IJLi1EEEEEEENSM_IJNSC_IJLi1ELi2EEEENSC_IJLi3ELi4EEEENSC_IJLi5EEEEEEENSC_IJLi3ELi5ELi4EEEElEEKNSL_INSM_IJNSN_INSM_IJiiiiEEENSM_IJiiiSQ_EEELb0EEEEEENSM_IJSY_EEENSM_IJNSC_IJLi1ELi2ELi3ELi4EEEEEEES1E_lEEKNSL_INSM_IJSS_NS_8RightPadIiiLb0EEES1J_NST_INSM_IJiNSP_IiLi256EEEEEELb0EEES1M_EEENSM_IJSY_S10_SZ_NSC_IJLi3EEEENSC_IJLi4EEEEEEENSM_IJS12_S1O_S1P_NSC_IJLi5ELi6EEEENSC_IJLi7ELi8EEEEEEENSC_IJLi5ELi6ELi7ELi8EEEElEELb1ELNS_25InMemoryDataOperationEnumE1ELNS_10TailNumberE0EEEvPKS5_PKS6_PDF16_PvS24_RKNSJ_7ProblemERKT_RKT0_RKT1_i.a_block_slice_copy_step, 12

	.type	__const._ZN2ck41GridwiseGemm_xdl_cshuffle_v3_b_preshuffleINS_13tensor_layout4gemm8RowMajorENS2_11ColumnMajorES3_NS_9f8_fnuz_tENS_7pk_i4_tEfDF16_DF16_NS_16tensor_operation12element_wise11PassThroughES9_S9_LNS7_6device18GemmSpecializationE0ELi256ELi256ELi256ELi128ELi16ELi32ELi16ELi16ELi8ELi4ENS_8SequenceIJLi8ELi32ELi1EEEENSC_IJLi1ELi0ELi2EEEESE_Li2ELi16ELi16ELb0ELi0ENSC_IJLi4ELi64ELi1EEEESE_SE_Li2ELi32ELi32ELb0ELi0ELi1ELi1ENSC_IJLi1ELi32ELi1ELi8EEEELi4ELNS_26BlockGemmPipelineSchedulerE0ELNS_24BlockGemmPipelineVersionE2ES5_S5_Lb0ELb0ELi0EE8Run_2LdsIKNS_16TensorDescriptorINS_5TupleIJNS_5EmbedINSM_IJiiEEENSM_IJiNS_17integral_constantIiLi1EEEEEELb0EEENS_7UnMergeISO_Lb0EEENS_11PassThroughIiEEEEENSM_IJNSC_IJLi0EEEENSC_IJLi2EEEENSC_IJLi1EEEEEEENSM_IJNSC_IJLi1ELi2EEEENSC_IJLi3ELi4EEEENSC_IJLi5EEEEEEENSC_IJLi3ELi5ELi4EEEElEEKNSL_INSM_IJNSN_INSM_IJiiiiEEENSM_IJiiiSQ_EEELb0EEEEEENSM_IJSY_EEENSM_IJNSC_IJLi1ELi2ELi3ELi4EEEEEEES1E_lEEKNSL_INSM_IJSS_NS_8RightPadIiiLb0EEES1J_NST_INSM_IJiNSP_IiLi256EEEEEELb0EEES1M_EEENSM_IJSY_S10_SZ_NSC_IJLi3EEEENSC_IJLi4EEEEEEENSM_IJS12_S1O_S1P_NSC_IJLi5ELi6EEEENSC_IJLi7ELi8EEEEEEENSC_IJLi5ELi6ELi7ELi8EEEElEELb1ELNS_25InMemoryDataOperationEnumE1ELNS_10TailNumberE0EEEvPKS5_PKS6_PDF16_PvS24_RKNSJ_7ProblemERKT_RKT0_RKT1_i.b_block_slice_copy_step,@object ; @__const._ZN2ck41GridwiseGemm_xdl_cshuffle_v3_b_preshuffleINS_13tensor_layout4gemm8RowMajorENS2_11ColumnMajorES3_NS_9f8_fnuz_tENS_7pk_i4_tEfDF16_DF16_NS_16tensor_operation12element_wise11PassThroughES9_S9_LNS7_6device18GemmSpecializationE0ELi256ELi256ELi256ELi128ELi16ELi32ELi16ELi16ELi8ELi4ENS_8SequenceIJLi8ELi32ELi1EEEENSC_IJLi1ELi0ELi2EEEESE_Li2ELi16ELi16ELb0ELi0ENSC_IJLi4ELi64ELi1EEEESE_SE_Li2ELi32ELi32ELb0ELi0ELi1ELi1ENSC_IJLi1ELi32ELi1ELi8EEEELi4ELNS_26BlockGemmPipelineSchedulerE0ELNS_24BlockGemmPipelineVersionE2ES5_S5_Lb0ELb0ELi0EE8Run_2LdsIKNS_16TensorDescriptorINS_5TupleIJNS_5EmbedINSM_IJiiEEENSM_IJiNS_17integral_constantIiLi1EEEEEELb0EEENS_7UnMergeISO_Lb0EEENS_11PassThroughIiEEEEENSM_IJNSC_IJLi0EEEENSC_IJLi2EEEENSC_IJLi1EEEEEEENSM_IJNSC_IJLi1ELi2EEEENSC_IJLi3ELi4EEEENSC_IJLi5EEEEEEENSC_IJLi3ELi5ELi4EEEElEEKNSL_INSM_IJNSN_INSM_IJiiiiEEENSM_IJiiiSQ_EEELb0EEEEEENSM_IJSY_EEENSM_IJNSC_IJLi1ELi2ELi3ELi4EEEEEEES1E_lEEKNSL_INSM_IJSS_NS_8RightPadIiiLb0EEES1J_NST_INSM_IJiNSP_IiLi256EEEEEELb0EEES1M_EEENSM_IJSY_S10_SZ_NSC_IJLi3EEEENSC_IJLi4EEEEEEENSM_IJS12_S1O_S1P_NSC_IJLi5ELi6EEEENSC_IJLi7ELi8EEEEEEENSC_IJLi5ELi6ELi7ELi8EEEElEELb1ELNS_25InMemoryDataOperationEnumE1ELNS_10TailNumberE0EEEvPKS5_PKS6_PDF16_PvS24_RKNSJ_7ProblemERKT_RKT0_RKT1_i.b_block_slice_copy_step
	.section	.rodata.cst16,"aM",@progbits,16
	.p2align	2, 0x0
__const._ZN2ck41GridwiseGemm_xdl_cshuffle_v3_b_preshuffleINS_13tensor_layout4gemm8RowMajorENS2_11ColumnMajorES3_NS_9f8_fnuz_tENS_7pk_i4_tEfDF16_DF16_NS_16tensor_operation12element_wise11PassThroughES9_S9_LNS7_6device18GemmSpecializationE0ELi256ELi256ELi256ELi128ELi16ELi32ELi16ELi16ELi8ELi4ENS_8SequenceIJLi8ELi32ELi1EEEENSC_IJLi1ELi0ELi2EEEESE_Li2ELi16ELi16ELb0ELi0ENSC_IJLi4ELi64ELi1EEEESE_SE_Li2ELi32ELi32ELb0ELi0ELi1ELi1ENSC_IJLi1ELi32ELi1ELi8EEEELi4ELNS_26BlockGemmPipelineSchedulerE0ELNS_24BlockGemmPipelineVersionE2ES5_S5_Lb0ELb0ELi0EE8Run_2LdsIKNS_16TensorDescriptorINS_5TupleIJNS_5EmbedINSM_IJiiEEENSM_IJiNS_17integral_constantIiLi1EEEEEELb0EEENS_7UnMergeISO_Lb0EEENS_11PassThroughIiEEEEENSM_IJNSC_IJLi0EEEENSC_IJLi2EEEENSC_IJLi1EEEEEEENSM_IJNSC_IJLi1ELi2EEEENSC_IJLi3ELi4EEEENSC_IJLi5EEEEEEENSC_IJLi3ELi5ELi4EEEElEEKNSL_INSM_IJNSN_INSM_IJiiiiEEENSM_IJiiiSQ_EEELb0EEEEEENSM_IJSY_EEENSM_IJNSC_IJLi1ELi2ELi3ELi4EEEEEEES1E_lEEKNSL_INSM_IJSS_NS_8RightPadIiiLb0EEES1J_NST_INSM_IJiNSP_IiLi256EEEEEELb0EEES1M_EEENSM_IJSY_S10_SZ_NSC_IJLi3EEEENSC_IJLi4EEEEEEENSM_IJS12_S1O_S1P_NSC_IJLi5ELi6EEEENSC_IJLi7ELi8EEEEEEENSC_IJLi5ELi6ELi7ELi8EEEElEELb1ELNS_25InMemoryDataOperationEnumE1ELNS_10TailNumberE0EEEvPKS5_PKS6_PDF16_PvS24_RKNSJ_7ProblemERKT_RKT0_RKT1_i.b_block_slice_copy_step:
	.long	0                               ; 0x0
	.long	0                               ; 0x0
	;; [unrolled: 1-line block ×4, first 2 shown]
	.size	__const._ZN2ck41GridwiseGemm_xdl_cshuffle_v3_b_preshuffleINS_13tensor_layout4gemm8RowMajorENS2_11ColumnMajorES3_NS_9f8_fnuz_tENS_7pk_i4_tEfDF16_DF16_NS_16tensor_operation12element_wise11PassThroughES9_S9_LNS7_6device18GemmSpecializationE0ELi256ELi256ELi256ELi128ELi16ELi32ELi16ELi16ELi8ELi4ENS_8SequenceIJLi8ELi32ELi1EEEENSC_IJLi1ELi0ELi2EEEESE_Li2ELi16ELi16ELb0ELi0ENSC_IJLi4ELi64ELi1EEEESE_SE_Li2ELi32ELi32ELb0ELi0ELi1ELi1ENSC_IJLi1ELi32ELi1ELi8EEEELi4ELNS_26BlockGemmPipelineSchedulerE0ELNS_24BlockGemmPipelineVersionE2ES5_S5_Lb0ELb0ELi0EE8Run_2LdsIKNS_16TensorDescriptorINS_5TupleIJNS_5EmbedINSM_IJiiEEENSM_IJiNS_17integral_constantIiLi1EEEEEELb0EEENS_7UnMergeISO_Lb0EEENS_11PassThroughIiEEEEENSM_IJNSC_IJLi0EEEENSC_IJLi2EEEENSC_IJLi1EEEEEEENSM_IJNSC_IJLi1ELi2EEEENSC_IJLi3ELi4EEEENSC_IJLi5EEEEEEENSC_IJLi3ELi5ELi4EEEElEEKNSL_INSM_IJNSN_INSM_IJiiiiEEENSM_IJiiiSQ_EEELb0EEEEEENSM_IJSY_EEENSM_IJNSC_IJLi1ELi2ELi3ELi4EEEEEEES1E_lEEKNSL_INSM_IJSS_NS_8RightPadIiiLb0EEES1J_NST_INSM_IJiNSP_IiLi256EEEEEELb0EEES1M_EEENSM_IJSY_S10_SZ_NSC_IJLi3EEEENSC_IJLi4EEEEEEENSM_IJS12_S1O_S1P_NSC_IJLi5ELi6EEEENSC_IJLi7ELi8EEEEEEENSC_IJLi5ELi6ELi7ELi8EEEElEELb1ELNS_25InMemoryDataOperationEnumE1ELNS_10TailNumberE0EEEvPKS5_PKS6_PDF16_PvS24_RKNSJ_7ProblemERKT_RKT0_RKT1_i.b_block_slice_copy_step, 16

	.type	__const._ZN2ck41GridwiseGemm_xdl_cshuffle_v3_b_preshuffleINS_13tensor_layout4gemm8RowMajorENS2_11ColumnMajorES3_NS_9f8_fnuz_tENS_7pk_i4_tEfDF16_DF16_NS_16tensor_operation12element_wise11PassThroughES9_S9_LNS7_6device18GemmSpecializationE0ELi256ELi256ELi256ELi128ELi16ELi32ELi16ELi16ELi8ELi4ENS_8SequenceIJLi8ELi32ELi1EEEENSC_IJLi1ELi0ELi2EEEESE_Li2ELi16ELi16ELb0ELi0ENSC_IJLi4ELi64ELi1EEEESE_SE_Li2ELi32ELi32ELb0ELi0ELi1ELi1ENSC_IJLi1ELi32ELi1ELi8EEEELi4ELNS_26BlockGemmPipelineSchedulerE0ELNS_24BlockGemmPipelineVersionE2ES5_S5_Lb0ELb0ELi0EE8Run_2LdsIKNS_16TensorDescriptorINS_5TupleIJNS_5EmbedINSM_IJiiEEENSM_IJiNS_17integral_constantIiLi1EEEEEELb0EEENS_7UnMergeISO_Lb0EEENS_11PassThroughIiEEEEENSM_IJNSC_IJLi0EEEENSC_IJLi2EEEENSC_IJLi1EEEEEEENSM_IJNSC_IJLi1ELi2EEEENSC_IJLi3ELi4EEEENSC_IJLi5EEEEEEENSC_IJLi3ELi5ELi4EEEElEEKNSL_INSM_IJNSN_INSM_IJiiiiEEENSM_IJiiiSQ_EEELb0EEEEEENSM_IJSY_EEENSM_IJNSC_IJLi1ELi2ELi3ELi4EEEEEEES1E_lEEKNSL_INSM_IJSS_NS_8RightPadIiiLb0EEES1J_NST_INSM_IJiNSP_IiLi256EEEEEELb0EEES1M_EEENSM_IJSY_S10_SZ_NSC_IJLi3EEEENSC_IJLi4EEEEEEENSM_IJS12_S1O_S1P_NSC_IJLi5ELi6EEEENSC_IJLi7ELi8EEEEEEENSC_IJLi5ELi6ELi7ELi8EEEElEELb1ELNS_25InMemoryDataOperationEnumE1ELNS_10TailNumberE1EEEvPKS5_PKS6_PDF16_PvS24_RKNSJ_7ProblemERKT_RKT0_RKT1_i.a_block_slice_copy_step,@object ; @__const._ZN2ck41GridwiseGemm_xdl_cshuffle_v3_b_preshuffleINS_13tensor_layout4gemm8RowMajorENS2_11ColumnMajorES3_NS_9f8_fnuz_tENS_7pk_i4_tEfDF16_DF16_NS_16tensor_operation12element_wise11PassThroughES9_S9_LNS7_6device18GemmSpecializationE0ELi256ELi256ELi256ELi128ELi16ELi32ELi16ELi16ELi8ELi4ENS_8SequenceIJLi8ELi32ELi1EEEENSC_IJLi1ELi0ELi2EEEESE_Li2ELi16ELi16ELb0ELi0ENSC_IJLi4ELi64ELi1EEEESE_SE_Li2ELi32ELi32ELb0ELi0ELi1ELi1ENSC_IJLi1ELi32ELi1ELi8EEEELi4ELNS_26BlockGemmPipelineSchedulerE0ELNS_24BlockGemmPipelineVersionE2ES5_S5_Lb0ELb0ELi0EE8Run_2LdsIKNS_16TensorDescriptorINS_5TupleIJNS_5EmbedINSM_IJiiEEENSM_IJiNS_17integral_constantIiLi1EEEEEELb0EEENS_7UnMergeISO_Lb0EEENS_11PassThroughIiEEEEENSM_IJNSC_IJLi0EEEENSC_IJLi2EEEENSC_IJLi1EEEEEEENSM_IJNSC_IJLi1ELi2EEEENSC_IJLi3ELi4EEEENSC_IJLi5EEEEEEENSC_IJLi3ELi5ELi4EEEElEEKNSL_INSM_IJNSN_INSM_IJiiiiEEENSM_IJiiiSQ_EEELb0EEEEEENSM_IJSY_EEENSM_IJNSC_IJLi1ELi2ELi3ELi4EEEEEEES1E_lEEKNSL_INSM_IJSS_NS_8RightPadIiiLb0EEES1J_NST_INSM_IJiNSP_IiLi256EEEEEELb0EEES1M_EEENSM_IJSY_S10_SZ_NSC_IJLi3EEEENSC_IJLi4EEEEEEENSM_IJS12_S1O_S1P_NSC_IJLi5ELi6EEEENSC_IJLi7ELi8EEEEEEENSC_IJLi5ELi6ELi7ELi8EEEElEELb1ELNS_25InMemoryDataOperationEnumE1ELNS_10TailNumberE1EEEvPKS5_PKS6_PDF16_PvS24_RKNSJ_7ProblemERKT_RKT0_RKT1_i.a_block_slice_copy_step
	.section	.rodata,"a",@progbits
	.p2align	2, 0x0
__const._ZN2ck41GridwiseGemm_xdl_cshuffle_v3_b_preshuffleINS_13tensor_layout4gemm8RowMajorENS2_11ColumnMajorES3_NS_9f8_fnuz_tENS_7pk_i4_tEfDF16_DF16_NS_16tensor_operation12element_wise11PassThroughES9_S9_LNS7_6device18GemmSpecializationE0ELi256ELi256ELi256ELi128ELi16ELi32ELi16ELi16ELi8ELi4ENS_8SequenceIJLi8ELi32ELi1EEEENSC_IJLi1ELi0ELi2EEEESE_Li2ELi16ELi16ELb0ELi0ENSC_IJLi4ELi64ELi1EEEESE_SE_Li2ELi32ELi32ELb0ELi0ELi1ELi1ENSC_IJLi1ELi32ELi1ELi8EEEELi4ELNS_26BlockGemmPipelineSchedulerE0ELNS_24BlockGemmPipelineVersionE2ES5_S5_Lb0ELb0ELi0EE8Run_2LdsIKNS_16TensorDescriptorINS_5TupleIJNS_5EmbedINSM_IJiiEEENSM_IJiNS_17integral_constantIiLi1EEEEEELb0EEENS_7UnMergeISO_Lb0EEENS_11PassThroughIiEEEEENSM_IJNSC_IJLi0EEEENSC_IJLi2EEEENSC_IJLi1EEEEEEENSM_IJNSC_IJLi1ELi2EEEENSC_IJLi3ELi4EEEENSC_IJLi5EEEEEEENSC_IJLi3ELi5ELi4EEEElEEKNSL_INSM_IJNSN_INSM_IJiiiiEEENSM_IJiiiSQ_EEELb0EEEEEENSM_IJSY_EEENSM_IJNSC_IJLi1ELi2ELi3ELi4EEEEEEES1E_lEEKNSL_INSM_IJSS_NS_8RightPadIiiLb0EEES1J_NST_INSM_IJiNSP_IiLi256EEEEEELb0EEES1M_EEENSM_IJSY_S10_SZ_NSC_IJLi3EEEENSC_IJLi4EEEEEEENSM_IJS12_S1O_S1P_NSC_IJLi5ELi6EEEENSC_IJLi7ELi8EEEEEEENSC_IJLi5ELi6ELi7ELi8EEEElEELb1ELNS_25InMemoryDataOperationEnumE1ELNS_10TailNumberE1EEEvPKS5_PKS6_PDF16_PvS24_RKNSJ_7ProblemERKT_RKT0_RKT1_i.a_block_slice_copy_step:
	.long	8                               ; 0x8
	.long	0                               ; 0x0
	;; [unrolled: 1-line block ×3, first 2 shown]
	.size	__const._ZN2ck41GridwiseGemm_xdl_cshuffle_v3_b_preshuffleINS_13tensor_layout4gemm8RowMajorENS2_11ColumnMajorES3_NS_9f8_fnuz_tENS_7pk_i4_tEfDF16_DF16_NS_16tensor_operation12element_wise11PassThroughES9_S9_LNS7_6device18GemmSpecializationE0ELi256ELi256ELi256ELi128ELi16ELi32ELi16ELi16ELi8ELi4ENS_8SequenceIJLi8ELi32ELi1EEEENSC_IJLi1ELi0ELi2EEEESE_Li2ELi16ELi16ELb0ELi0ENSC_IJLi4ELi64ELi1EEEESE_SE_Li2ELi32ELi32ELb0ELi0ELi1ELi1ENSC_IJLi1ELi32ELi1ELi8EEEELi4ELNS_26BlockGemmPipelineSchedulerE0ELNS_24BlockGemmPipelineVersionE2ES5_S5_Lb0ELb0ELi0EE8Run_2LdsIKNS_16TensorDescriptorINS_5TupleIJNS_5EmbedINSM_IJiiEEENSM_IJiNS_17integral_constantIiLi1EEEEEELb0EEENS_7UnMergeISO_Lb0EEENS_11PassThroughIiEEEEENSM_IJNSC_IJLi0EEEENSC_IJLi2EEEENSC_IJLi1EEEEEEENSM_IJNSC_IJLi1ELi2EEEENSC_IJLi3ELi4EEEENSC_IJLi5EEEEEEENSC_IJLi3ELi5ELi4EEEElEEKNSL_INSM_IJNSN_INSM_IJiiiiEEENSM_IJiiiSQ_EEELb0EEEEEENSM_IJSY_EEENSM_IJNSC_IJLi1ELi2ELi3ELi4EEEEEEES1E_lEEKNSL_INSM_IJSS_NS_8RightPadIiiLb0EEES1J_NST_INSM_IJiNSP_IiLi256EEEEEELb0EEES1M_EEENSM_IJSY_S10_SZ_NSC_IJLi3EEEENSC_IJLi4EEEEEEENSM_IJS12_S1O_S1P_NSC_IJLi5ELi6EEEENSC_IJLi7ELi8EEEEEEENSC_IJLi5ELi6ELi7ELi8EEEElEELb1ELNS_25InMemoryDataOperationEnumE1ELNS_10TailNumberE1EEEvPKS5_PKS6_PDF16_PvS24_RKNSJ_7ProblemERKT_RKT0_RKT1_i.a_block_slice_copy_step, 12

	.type	__const._ZN2ck41GridwiseGemm_xdl_cshuffle_v3_b_preshuffleINS_13tensor_layout4gemm8RowMajorENS2_11ColumnMajorES3_NS_9f8_fnuz_tENS_7pk_i4_tEfDF16_DF16_NS_16tensor_operation12element_wise11PassThroughES9_S9_LNS7_6device18GemmSpecializationE0ELi256ELi256ELi256ELi128ELi16ELi32ELi16ELi16ELi8ELi4ENS_8SequenceIJLi8ELi32ELi1EEEENSC_IJLi1ELi0ELi2EEEESE_Li2ELi16ELi16ELb0ELi0ENSC_IJLi4ELi64ELi1EEEESE_SE_Li2ELi32ELi32ELb0ELi0ELi1ELi1ENSC_IJLi1ELi32ELi1ELi8EEEELi4ELNS_26BlockGemmPipelineSchedulerE0ELNS_24BlockGemmPipelineVersionE2ES5_S5_Lb0ELb0ELi0EE8Run_2LdsIKNS_16TensorDescriptorINS_5TupleIJNS_5EmbedINSM_IJiiEEENSM_IJiNS_17integral_constantIiLi1EEEEEELb0EEENS_7UnMergeISO_Lb0EEENS_11PassThroughIiEEEEENSM_IJNSC_IJLi0EEEENSC_IJLi2EEEENSC_IJLi1EEEEEEENSM_IJNSC_IJLi1ELi2EEEENSC_IJLi3ELi4EEEENSC_IJLi5EEEEEEENSC_IJLi3ELi5ELi4EEEElEEKNSL_INSM_IJNSN_INSM_IJiiiiEEENSM_IJiiiSQ_EEELb0EEEEEENSM_IJSY_EEENSM_IJNSC_IJLi1ELi2ELi3ELi4EEEEEEES1E_lEEKNSL_INSM_IJSS_NS_8RightPadIiiLb0EEES1J_NST_INSM_IJiNSP_IiLi256EEEEEELb0EEES1M_EEENSM_IJSY_S10_SZ_NSC_IJLi3EEEENSC_IJLi4EEEEEEENSM_IJS12_S1O_S1P_NSC_IJLi5ELi6EEEENSC_IJLi7ELi8EEEEEEENSC_IJLi5ELi6ELi7ELi8EEEElEELb1ELNS_25InMemoryDataOperationEnumE1ELNS_10TailNumberE1EEEvPKS5_PKS6_PDF16_PvS24_RKNSJ_7ProblemERKT_RKT0_RKT1_i.b_block_slice_copy_step,@object ; @__const._ZN2ck41GridwiseGemm_xdl_cshuffle_v3_b_preshuffleINS_13tensor_layout4gemm8RowMajorENS2_11ColumnMajorES3_NS_9f8_fnuz_tENS_7pk_i4_tEfDF16_DF16_NS_16tensor_operation12element_wise11PassThroughES9_S9_LNS7_6device18GemmSpecializationE0ELi256ELi256ELi256ELi128ELi16ELi32ELi16ELi16ELi8ELi4ENS_8SequenceIJLi8ELi32ELi1EEEENSC_IJLi1ELi0ELi2EEEESE_Li2ELi16ELi16ELb0ELi0ENSC_IJLi4ELi64ELi1EEEESE_SE_Li2ELi32ELi32ELb0ELi0ELi1ELi1ENSC_IJLi1ELi32ELi1ELi8EEEELi4ELNS_26BlockGemmPipelineSchedulerE0ELNS_24BlockGemmPipelineVersionE2ES5_S5_Lb0ELb0ELi0EE8Run_2LdsIKNS_16TensorDescriptorINS_5TupleIJNS_5EmbedINSM_IJiiEEENSM_IJiNS_17integral_constantIiLi1EEEEEELb0EEENS_7UnMergeISO_Lb0EEENS_11PassThroughIiEEEEENSM_IJNSC_IJLi0EEEENSC_IJLi2EEEENSC_IJLi1EEEEEEENSM_IJNSC_IJLi1ELi2EEEENSC_IJLi3ELi4EEEENSC_IJLi5EEEEEEENSC_IJLi3ELi5ELi4EEEElEEKNSL_INSM_IJNSN_INSM_IJiiiiEEENSM_IJiiiSQ_EEELb0EEEEEENSM_IJSY_EEENSM_IJNSC_IJLi1ELi2ELi3ELi4EEEEEEES1E_lEEKNSL_INSM_IJSS_NS_8RightPadIiiLb0EEES1J_NST_INSM_IJiNSP_IiLi256EEEEEELb0EEES1M_EEENSM_IJSY_S10_SZ_NSC_IJLi3EEEENSC_IJLi4EEEEEEENSM_IJS12_S1O_S1P_NSC_IJLi5ELi6EEEENSC_IJLi7ELi8EEEEEEENSC_IJLi5ELi6ELi7ELi8EEEElEELb1ELNS_25InMemoryDataOperationEnumE1ELNS_10TailNumberE1EEEvPKS5_PKS6_PDF16_PvS24_RKNSJ_7ProblemERKT_RKT0_RKT1_i.b_block_slice_copy_step
	.section	.rodata.cst16,"aM",@progbits,16
	.p2align	2, 0x0
__const._ZN2ck41GridwiseGemm_xdl_cshuffle_v3_b_preshuffleINS_13tensor_layout4gemm8RowMajorENS2_11ColumnMajorES3_NS_9f8_fnuz_tENS_7pk_i4_tEfDF16_DF16_NS_16tensor_operation12element_wise11PassThroughES9_S9_LNS7_6device18GemmSpecializationE0ELi256ELi256ELi256ELi128ELi16ELi32ELi16ELi16ELi8ELi4ENS_8SequenceIJLi8ELi32ELi1EEEENSC_IJLi1ELi0ELi2EEEESE_Li2ELi16ELi16ELb0ELi0ENSC_IJLi4ELi64ELi1EEEESE_SE_Li2ELi32ELi32ELb0ELi0ELi1ELi1ENSC_IJLi1ELi32ELi1ELi8EEEELi4ELNS_26BlockGemmPipelineSchedulerE0ELNS_24BlockGemmPipelineVersionE2ES5_S5_Lb0ELb0ELi0EE8Run_2LdsIKNS_16TensorDescriptorINS_5TupleIJNS_5EmbedINSM_IJiiEEENSM_IJiNS_17integral_constantIiLi1EEEEEELb0EEENS_7UnMergeISO_Lb0EEENS_11PassThroughIiEEEEENSM_IJNSC_IJLi0EEEENSC_IJLi2EEEENSC_IJLi1EEEEEEENSM_IJNSC_IJLi1ELi2EEEENSC_IJLi3ELi4EEEENSC_IJLi5EEEEEEENSC_IJLi3ELi5ELi4EEEElEEKNSL_INSM_IJNSN_INSM_IJiiiiEEENSM_IJiiiSQ_EEELb0EEEEEENSM_IJSY_EEENSM_IJNSC_IJLi1ELi2ELi3ELi4EEEEEEES1E_lEEKNSL_INSM_IJSS_NS_8RightPadIiiLb0EEES1J_NST_INSM_IJiNSP_IiLi256EEEEEELb0EEES1M_EEENSM_IJSY_S10_SZ_NSC_IJLi3EEEENSC_IJLi4EEEEEEENSM_IJS12_S1O_S1P_NSC_IJLi5ELi6EEEENSC_IJLi7ELi8EEEEEEENSC_IJLi5ELi6ELi7ELi8EEEElEELb1ELNS_25InMemoryDataOperationEnumE1ELNS_10TailNumberE1EEEvPKS5_PKS6_PDF16_PvS24_RKNSJ_7ProblemERKT_RKT0_RKT1_i.b_block_slice_copy_step:
	.long	0                               ; 0x0
	.long	0                               ; 0x0
	;; [unrolled: 1-line block ×4, first 2 shown]
	.size	__const._ZN2ck41GridwiseGemm_xdl_cshuffle_v3_b_preshuffleINS_13tensor_layout4gemm8RowMajorENS2_11ColumnMajorES3_NS_9f8_fnuz_tENS_7pk_i4_tEfDF16_DF16_NS_16tensor_operation12element_wise11PassThroughES9_S9_LNS7_6device18GemmSpecializationE0ELi256ELi256ELi256ELi128ELi16ELi32ELi16ELi16ELi8ELi4ENS_8SequenceIJLi8ELi32ELi1EEEENSC_IJLi1ELi0ELi2EEEESE_Li2ELi16ELi16ELb0ELi0ENSC_IJLi4ELi64ELi1EEEESE_SE_Li2ELi32ELi32ELb0ELi0ELi1ELi1ENSC_IJLi1ELi32ELi1ELi8EEEELi4ELNS_26BlockGemmPipelineSchedulerE0ELNS_24BlockGemmPipelineVersionE2ES5_S5_Lb0ELb0ELi0EE8Run_2LdsIKNS_16TensorDescriptorINS_5TupleIJNS_5EmbedINSM_IJiiEEENSM_IJiNS_17integral_constantIiLi1EEEEEELb0EEENS_7UnMergeISO_Lb0EEENS_11PassThroughIiEEEEENSM_IJNSC_IJLi0EEEENSC_IJLi2EEEENSC_IJLi1EEEEEEENSM_IJNSC_IJLi1ELi2EEEENSC_IJLi3ELi4EEEENSC_IJLi5EEEEEEENSC_IJLi3ELi5ELi4EEEElEEKNSL_INSM_IJNSN_INSM_IJiiiiEEENSM_IJiiiSQ_EEELb0EEEEEENSM_IJSY_EEENSM_IJNSC_IJLi1ELi2ELi3ELi4EEEEEEES1E_lEEKNSL_INSM_IJSS_NS_8RightPadIiiLb0EEES1J_NST_INSM_IJiNSP_IiLi256EEEEEELb0EEES1M_EEENSM_IJSY_S10_SZ_NSC_IJLi3EEEENSC_IJLi4EEEEEEENSM_IJS12_S1O_S1P_NSC_IJLi5ELi6EEEENSC_IJLi7ELi8EEEEEEENSC_IJLi5ELi6ELi7ELi8EEEElEELb1ELNS_25InMemoryDataOperationEnumE1ELNS_10TailNumberE1EEEvPKS5_PKS6_PDF16_PvS24_RKNSJ_7ProblemERKT_RKT0_RKT1_i.b_block_slice_copy_step, 16

	.type	__const._ZN2ck41GridwiseGemm_xdl_cshuffle_v3_b_preshuffleINS_13tensor_layout4gemm8RowMajorENS2_11ColumnMajorES3_NS_9f8_fnuz_tENS_7pk_i4_tEfDF16_DF16_NS_16tensor_operation12element_wise11PassThroughES9_S9_LNS7_6device18GemmSpecializationE0ELi256ELi256ELi256ELi128ELi16ELi32ELi16ELi16ELi8ELi4ENS_8SequenceIJLi8ELi32ELi1EEEENSC_IJLi1ELi0ELi2EEEESE_Li2ELi16ELi16ELb0ELi0ENSC_IJLi4ELi64ELi1EEEESE_SE_Li2ELi32ELi32ELb0ELi0ELi1ELi1ENSC_IJLi1ELi32ELi1ELi8EEEELi4ELNS_26BlockGemmPipelineSchedulerE0ELNS_24BlockGemmPipelineVersionE2ES5_S5_Lb0ELb0ELi0EE8Run_2LdsIKNS_16TensorDescriptorINS_5TupleIJNS_5EmbedINSM_IJiiEEENSM_IJiNS_17integral_constantIiLi1EEEEEELb0EEENS_7UnMergeISO_Lb0EEENS_11PassThroughIiEEEEENSM_IJNSC_IJLi0EEEENSC_IJLi2EEEENSC_IJLi1EEEEEEENSM_IJNSC_IJLi1ELi2EEEENSC_IJLi3ELi4EEEENSC_IJLi5EEEEEEENSC_IJLi3ELi5ELi4EEEElEEKNSL_INSM_IJNSN_INSM_IJiiiiEEENSM_IJiiiSQ_EEELb0EEEEEENSM_IJSY_EEENSM_IJNSC_IJLi1ELi2ELi3ELi4EEEEEEES1E_lEEKNSL_INSM_IJSS_NS_8RightPadIiiLb0EEES1J_NST_INSM_IJiNSP_IiLi256EEEEEELb0EEES1M_EEENSM_IJSY_S10_SZ_NSC_IJLi3EEEENSC_IJLi4EEEEEEENSM_IJS12_S1O_S1P_NSC_IJLi5ELi6EEEENSC_IJLi7ELi8EEEEEEENSC_IJLi5ELi6ELi7ELi8EEEElEELb1ELNS_25InMemoryDataOperationEnumE0ELNS_10TailNumberE0EEEvPKS5_PKS6_PDF16_PvS24_RKNSJ_7ProblemERKT_RKT0_RKT1_i.a_block_slice_copy_step,@object ; @__const._ZN2ck41GridwiseGemm_xdl_cshuffle_v3_b_preshuffleINS_13tensor_layout4gemm8RowMajorENS2_11ColumnMajorES3_NS_9f8_fnuz_tENS_7pk_i4_tEfDF16_DF16_NS_16tensor_operation12element_wise11PassThroughES9_S9_LNS7_6device18GemmSpecializationE0ELi256ELi256ELi256ELi128ELi16ELi32ELi16ELi16ELi8ELi4ENS_8SequenceIJLi8ELi32ELi1EEEENSC_IJLi1ELi0ELi2EEEESE_Li2ELi16ELi16ELb0ELi0ENSC_IJLi4ELi64ELi1EEEESE_SE_Li2ELi32ELi32ELb0ELi0ELi1ELi1ENSC_IJLi1ELi32ELi1ELi8EEEELi4ELNS_26BlockGemmPipelineSchedulerE0ELNS_24BlockGemmPipelineVersionE2ES5_S5_Lb0ELb0ELi0EE8Run_2LdsIKNS_16TensorDescriptorINS_5TupleIJNS_5EmbedINSM_IJiiEEENSM_IJiNS_17integral_constantIiLi1EEEEEELb0EEENS_7UnMergeISO_Lb0EEENS_11PassThroughIiEEEEENSM_IJNSC_IJLi0EEEENSC_IJLi2EEEENSC_IJLi1EEEEEEENSM_IJNSC_IJLi1ELi2EEEENSC_IJLi3ELi4EEEENSC_IJLi5EEEEEEENSC_IJLi3ELi5ELi4EEEElEEKNSL_INSM_IJNSN_INSM_IJiiiiEEENSM_IJiiiSQ_EEELb0EEEEEENSM_IJSY_EEENSM_IJNSC_IJLi1ELi2ELi3ELi4EEEEEEES1E_lEEKNSL_INSM_IJSS_NS_8RightPadIiiLb0EEES1J_NST_INSM_IJiNSP_IiLi256EEEEEELb0EEES1M_EEENSM_IJSY_S10_SZ_NSC_IJLi3EEEENSC_IJLi4EEEEEEENSM_IJS12_S1O_S1P_NSC_IJLi5ELi6EEEENSC_IJLi7ELi8EEEEEEENSC_IJLi5ELi6ELi7ELi8EEEElEELb1ELNS_25InMemoryDataOperationEnumE0ELNS_10TailNumberE0EEEvPKS5_PKS6_PDF16_PvS24_RKNSJ_7ProblemERKT_RKT0_RKT1_i.a_block_slice_copy_step
	.section	.rodata,"a",@progbits
	.p2align	2, 0x0
__const._ZN2ck41GridwiseGemm_xdl_cshuffle_v3_b_preshuffleINS_13tensor_layout4gemm8RowMajorENS2_11ColumnMajorES3_NS_9f8_fnuz_tENS_7pk_i4_tEfDF16_DF16_NS_16tensor_operation12element_wise11PassThroughES9_S9_LNS7_6device18GemmSpecializationE0ELi256ELi256ELi256ELi128ELi16ELi32ELi16ELi16ELi8ELi4ENS_8SequenceIJLi8ELi32ELi1EEEENSC_IJLi1ELi0ELi2EEEESE_Li2ELi16ELi16ELb0ELi0ENSC_IJLi4ELi64ELi1EEEESE_SE_Li2ELi32ELi32ELb0ELi0ELi1ELi1ENSC_IJLi1ELi32ELi1ELi8EEEELi4ELNS_26BlockGemmPipelineSchedulerE0ELNS_24BlockGemmPipelineVersionE2ES5_S5_Lb0ELb0ELi0EE8Run_2LdsIKNS_16TensorDescriptorINS_5TupleIJNS_5EmbedINSM_IJiiEEENSM_IJiNS_17integral_constantIiLi1EEEEEELb0EEENS_7UnMergeISO_Lb0EEENS_11PassThroughIiEEEEENSM_IJNSC_IJLi0EEEENSC_IJLi2EEEENSC_IJLi1EEEEEEENSM_IJNSC_IJLi1ELi2EEEENSC_IJLi3ELi4EEEENSC_IJLi5EEEEEEENSC_IJLi3ELi5ELi4EEEElEEKNSL_INSM_IJNSN_INSM_IJiiiiEEENSM_IJiiiSQ_EEELb0EEEEEENSM_IJSY_EEENSM_IJNSC_IJLi1ELi2ELi3ELi4EEEEEEES1E_lEEKNSL_INSM_IJSS_NS_8RightPadIiiLb0EEES1J_NST_INSM_IJiNSP_IiLi256EEEEEELb0EEES1M_EEENSM_IJSY_S10_SZ_NSC_IJLi3EEEENSC_IJLi4EEEEEEENSM_IJS12_S1O_S1P_NSC_IJLi5ELi6EEEENSC_IJLi7ELi8EEEEEEENSC_IJLi5ELi6ELi7ELi8EEEElEELb1ELNS_25InMemoryDataOperationEnumE0ELNS_10TailNumberE0EEEvPKS5_PKS6_PDF16_PvS24_RKNSJ_7ProblemERKT_RKT0_RKT1_i.a_block_slice_copy_step:
	.long	8                               ; 0x8
	.long	0                               ; 0x0
	;; [unrolled: 1-line block ×3, first 2 shown]
	.size	__const._ZN2ck41GridwiseGemm_xdl_cshuffle_v3_b_preshuffleINS_13tensor_layout4gemm8RowMajorENS2_11ColumnMajorES3_NS_9f8_fnuz_tENS_7pk_i4_tEfDF16_DF16_NS_16tensor_operation12element_wise11PassThroughES9_S9_LNS7_6device18GemmSpecializationE0ELi256ELi256ELi256ELi128ELi16ELi32ELi16ELi16ELi8ELi4ENS_8SequenceIJLi8ELi32ELi1EEEENSC_IJLi1ELi0ELi2EEEESE_Li2ELi16ELi16ELb0ELi0ENSC_IJLi4ELi64ELi1EEEESE_SE_Li2ELi32ELi32ELb0ELi0ELi1ELi1ENSC_IJLi1ELi32ELi1ELi8EEEELi4ELNS_26BlockGemmPipelineSchedulerE0ELNS_24BlockGemmPipelineVersionE2ES5_S5_Lb0ELb0ELi0EE8Run_2LdsIKNS_16TensorDescriptorINS_5TupleIJNS_5EmbedINSM_IJiiEEENSM_IJiNS_17integral_constantIiLi1EEEEEELb0EEENS_7UnMergeISO_Lb0EEENS_11PassThroughIiEEEEENSM_IJNSC_IJLi0EEEENSC_IJLi2EEEENSC_IJLi1EEEEEEENSM_IJNSC_IJLi1ELi2EEEENSC_IJLi3ELi4EEEENSC_IJLi5EEEEEEENSC_IJLi3ELi5ELi4EEEElEEKNSL_INSM_IJNSN_INSM_IJiiiiEEENSM_IJiiiSQ_EEELb0EEEEEENSM_IJSY_EEENSM_IJNSC_IJLi1ELi2ELi3ELi4EEEEEEES1E_lEEKNSL_INSM_IJSS_NS_8RightPadIiiLb0EEES1J_NST_INSM_IJiNSP_IiLi256EEEEEELb0EEES1M_EEENSM_IJSY_S10_SZ_NSC_IJLi3EEEENSC_IJLi4EEEEEEENSM_IJS12_S1O_S1P_NSC_IJLi5ELi6EEEENSC_IJLi7ELi8EEEEEEENSC_IJLi5ELi6ELi7ELi8EEEElEELb1ELNS_25InMemoryDataOperationEnumE0ELNS_10TailNumberE0EEEvPKS5_PKS6_PDF16_PvS24_RKNSJ_7ProblemERKT_RKT0_RKT1_i.a_block_slice_copy_step, 12

	.type	__const._ZN2ck41GridwiseGemm_xdl_cshuffle_v3_b_preshuffleINS_13tensor_layout4gemm8RowMajorENS2_11ColumnMajorES3_NS_9f8_fnuz_tENS_7pk_i4_tEfDF16_DF16_NS_16tensor_operation12element_wise11PassThroughES9_S9_LNS7_6device18GemmSpecializationE0ELi256ELi256ELi256ELi128ELi16ELi32ELi16ELi16ELi8ELi4ENS_8SequenceIJLi8ELi32ELi1EEEENSC_IJLi1ELi0ELi2EEEESE_Li2ELi16ELi16ELb0ELi0ENSC_IJLi4ELi64ELi1EEEESE_SE_Li2ELi32ELi32ELb0ELi0ELi1ELi1ENSC_IJLi1ELi32ELi1ELi8EEEELi4ELNS_26BlockGemmPipelineSchedulerE0ELNS_24BlockGemmPipelineVersionE2ES5_S5_Lb0ELb0ELi0EE8Run_2LdsIKNS_16TensorDescriptorINS_5TupleIJNS_5EmbedINSM_IJiiEEENSM_IJiNS_17integral_constantIiLi1EEEEEELb0EEENS_7UnMergeISO_Lb0EEENS_11PassThroughIiEEEEENSM_IJNSC_IJLi0EEEENSC_IJLi2EEEENSC_IJLi1EEEEEEENSM_IJNSC_IJLi1ELi2EEEENSC_IJLi3ELi4EEEENSC_IJLi5EEEEEEENSC_IJLi3ELi5ELi4EEEElEEKNSL_INSM_IJNSN_INSM_IJiiiiEEENSM_IJiiiSQ_EEELb0EEEEEENSM_IJSY_EEENSM_IJNSC_IJLi1ELi2ELi3ELi4EEEEEEES1E_lEEKNSL_INSM_IJSS_NS_8RightPadIiiLb0EEES1J_NST_INSM_IJiNSP_IiLi256EEEEEELb0EEES1M_EEENSM_IJSY_S10_SZ_NSC_IJLi3EEEENSC_IJLi4EEEEEEENSM_IJS12_S1O_S1P_NSC_IJLi5ELi6EEEENSC_IJLi7ELi8EEEEEEENSC_IJLi5ELi6ELi7ELi8EEEElEELb1ELNS_25InMemoryDataOperationEnumE0ELNS_10TailNumberE0EEEvPKS5_PKS6_PDF16_PvS24_RKNSJ_7ProblemERKT_RKT0_RKT1_i.b_block_slice_copy_step,@object ; @__const._ZN2ck41GridwiseGemm_xdl_cshuffle_v3_b_preshuffleINS_13tensor_layout4gemm8RowMajorENS2_11ColumnMajorES3_NS_9f8_fnuz_tENS_7pk_i4_tEfDF16_DF16_NS_16tensor_operation12element_wise11PassThroughES9_S9_LNS7_6device18GemmSpecializationE0ELi256ELi256ELi256ELi128ELi16ELi32ELi16ELi16ELi8ELi4ENS_8SequenceIJLi8ELi32ELi1EEEENSC_IJLi1ELi0ELi2EEEESE_Li2ELi16ELi16ELb0ELi0ENSC_IJLi4ELi64ELi1EEEESE_SE_Li2ELi32ELi32ELb0ELi0ELi1ELi1ENSC_IJLi1ELi32ELi1ELi8EEEELi4ELNS_26BlockGemmPipelineSchedulerE0ELNS_24BlockGemmPipelineVersionE2ES5_S5_Lb0ELb0ELi0EE8Run_2LdsIKNS_16TensorDescriptorINS_5TupleIJNS_5EmbedINSM_IJiiEEENSM_IJiNS_17integral_constantIiLi1EEEEEELb0EEENS_7UnMergeISO_Lb0EEENS_11PassThroughIiEEEEENSM_IJNSC_IJLi0EEEENSC_IJLi2EEEENSC_IJLi1EEEEEEENSM_IJNSC_IJLi1ELi2EEEENSC_IJLi3ELi4EEEENSC_IJLi5EEEEEEENSC_IJLi3ELi5ELi4EEEElEEKNSL_INSM_IJNSN_INSM_IJiiiiEEENSM_IJiiiSQ_EEELb0EEEEEENSM_IJSY_EEENSM_IJNSC_IJLi1ELi2ELi3ELi4EEEEEEES1E_lEEKNSL_INSM_IJSS_NS_8RightPadIiiLb0EEES1J_NST_INSM_IJiNSP_IiLi256EEEEEELb0EEES1M_EEENSM_IJSY_S10_SZ_NSC_IJLi3EEEENSC_IJLi4EEEEEEENSM_IJS12_S1O_S1P_NSC_IJLi5ELi6EEEENSC_IJLi7ELi8EEEEEEENSC_IJLi5ELi6ELi7ELi8EEEElEELb1ELNS_25InMemoryDataOperationEnumE0ELNS_10TailNumberE0EEEvPKS5_PKS6_PDF16_PvS24_RKNSJ_7ProblemERKT_RKT0_RKT1_i.b_block_slice_copy_step
	.section	.rodata.cst16,"aM",@progbits,16
	.p2align	2, 0x0
__const._ZN2ck41GridwiseGemm_xdl_cshuffle_v3_b_preshuffleINS_13tensor_layout4gemm8RowMajorENS2_11ColumnMajorES3_NS_9f8_fnuz_tENS_7pk_i4_tEfDF16_DF16_NS_16tensor_operation12element_wise11PassThroughES9_S9_LNS7_6device18GemmSpecializationE0ELi256ELi256ELi256ELi128ELi16ELi32ELi16ELi16ELi8ELi4ENS_8SequenceIJLi8ELi32ELi1EEEENSC_IJLi1ELi0ELi2EEEESE_Li2ELi16ELi16ELb0ELi0ENSC_IJLi4ELi64ELi1EEEESE_SE_Li2ELi32ELi32ELb0ELi0ELi1ELi1ENSC_IJLi1ELi32ELi1ELi8EEEELi4ELNS_26BlockGemmPipelineSchedulerE0ELNS_24BlockGemmPipelineVersionE2ES5_S5_Lb0ELb0ELi0EE8Run_2LdsIKNS_16TensorDescriptorINS_5TupleIJNS_5EmbedINSM_IJiiEEENSM_IJiNS_17integral_constantIiLi1EEEEEELb0EEENS_7UnMergeISO_Lb0EEENS_11PassThroughIiEEEEENSM_IJNSC_IJLi0EEEENSC_IJLi2EEEENSC_IJLi1EEEEEEENSM_IJNSC_IJLi1ELi2EEEENSC_IJLi3ELi4EEEENSC_IJLi5EEEEEEENSC_IJLi3ELi5ELi4EEEElEEKNSL_INSM_IJNSN_INSM_IJiiiiEEENSM_IJiiiSQ_EEELb0EEEEEENSM_IJSY_EEENSM_IJNSC_IJLi1ELi2ELi3ELi4EEEEEEES1E_lEEKNSL_INSM_IJSS_NS_8RightPadIiiLb0EEES1J_NST_INSM_IJiNSP_IiLi256EEEEEELb0EEES1M_EEENSM_IJSY_S10_SZ_NSC_IJLi3EEEENSC_IJLi4EEEEEEENSM_IJS12_S1O_S1P_NSC_IJLi5ELi6EEEENSC_IJLi7ELi8EEEEEEENSC_IJLi5ELi6ELi7ELi8EEEElEELb1ELNS_25InMemoryDataOperationEnumE0ELNS_10TailNumberE0EEEvPKS5_PKS6_PDF16_PvS24_RKNSJ_7ProblemERKT_RKT0_RKT1_i.b_block_slice_copy_step:
	.long	0                               ; 0x0
	.long	0                               ; 0x0
	;; [unrolled: 1-line block ×4, first 2 shown]
	.size	__const._ZN2ck41GridwiseGemm_xdl_cshuffle_v3_b_preshuffleINS_13tensor_layout4gemm8RowMajorENS2_11ColumnMajorES3_NS_9f8_fnuz_tENS_7pk_i4_tEfDF16_DF16_NS_16tensor_operation12element_wise11PassThroughES9_S9_LNS7_6device18GemmSpecializationE0ELi256ELi256ELi256ELi128ELi16ELi32ELi16ELi16ELi8ELi4ENS_8SequenceIJLi8ELi32ELi1EEEENSC_IJLi1ELi0ELi2EEEESE_Li2ELi16ELi16ELb0ELi0ENSC_IJLi4ELi64ELi1EEEESE_SE_Li2ELi32ELi32ELb0ELi0ELi1ELi1ENSC_IJLi1ELi32ELi1ELi8EEEELi4ELNS_26BlockGemmPipelineSchedulerE0ELNS_24BlockGemmPipelineVersionE2ES5_S5_Lb0ELb0ELi0EE8Run_2LdsIKNS_16TensorDescriptorINS_5TupleIJNS_5EmbedINSM_IJiiEEENSM_IJiNS_17integral_constantIiLi1EEEEEELb0EEENS_7UnMergeISO_Lb0EEENS_11PassThroughIiEEEEENSM_IJNSC_IJLi0EEEENSC_IJLi2EEEENSC_IJLi1EEEEEEENSM_IJNSC_IJLi1ELi2EEEENSC_IJLi3ELi4EEEENSC_IJLi5EEEEEEENSC_IJLi3ELi5ELi4EEEElEEKNSL_INSM_IJNSN_INSM_IJiiiiEEENSM_IJiiiSQ_EEELb0EEEEEENSM_IJSY_EEENSM_IJNSC_IJLi1ELi2ELi3ELi4EEEEEEES1E_lEEKNSL_INSM_IJSS_NS_8RightPadIiiLb0EEES1J_NST_INSM_IJiNSP_IiLi256EEEEEELb0EEES1M_EEENSM_IJSY_S10_SZ_NSC_IJLi3EEEENSC_IJLi4EEEEEEENSM_IJS12_S1O_S1P_NSC_IJLi5ELi6EEEENSC_IJLi7ELi8EEEEEEENSC_IJLi5ELi6ELi7ELi8EEEElEELb1ELNS_25InMemoryDataOperationEnumE0ELNS_10TailNumberE0EEEvPKS5_PKS6_PDF16_PvS24_RKNSJ_7ProblemERKT_RKT0_RKT1_i.b_block_slice_copy_step, 16

	.type	__const._ZN2ck41GridwiseGemm_xdl_cshuffle_v3_b_preshuffleINS_13tensor_layout4gemm8RowMajorENS2_11ColumnMajorES3_NS_9f8_fnuz_tENS_7pk_i4_tEfDF16_DF16_NS_16tensor_operation12element_wise11PassThroughES9_S9_LNS7_6device18GemmSpecializationE0ELi256ELi256ELi256ELi128ELi16ELi32ELi16ELi16ELi8ELi4ENS_8SequenceIJLi8ELi32ELi1EEEENSC_IJLi1ELi0ELi2EEEESE_Li2ELi16ELi16ELb0ELi0ENSC_IJLi4ELi64ELi1EEEESE_SE_Li2ELi32ELi32ELb0ELi0ELi1ELi1ENSC_IJLi1ELi32ELi1ELi8EEEELi4ELNS_26BlockGemmPipelineSchedulerE0ELNS_24BlockGemmPipelineVersionE2ES5_S5_Lb0ELb0ELi0EE8Run_2LdsIKNS_16TensorDescriptorINS_5TupleIJNS_5EmbedINSM_IJiiEEENSM_IJiNS_17integral_constantIiLi1EEEEEELb0EEENS_7UnMergeISO_Lb0EEENS_11PassThroughIiEEEEENSM_IJNSC_IJLi0EEEENSC_IJLi2EEEENSC_IJLi1EEEEEEENSM_IJNSC_IJLi1ELi2EEEENSC_IJLi3ELi4EEEENSC_IJLi5EEEEEEENSC_IJLi3ELi5ELi4EEEElEEKNSL_INSM_IJNSN_INSM_IJiiiiEEENSM_IJiiiSQ_EEELb0EEEEEENSM_IJSY_EEENSM_IJNSC_IJLi1ELi2ELi3ELi4EEEEEEES1E_lEEKNSL_INSM_IJSS_NS_8RightPadIiiLb0EEES1J_NST_INSM_IJiNSP_IiLi256EEEEEELb0EEES1M_EEENSM_IJSY_S10_SZ_NSC_IJLi3EEEENSC_IJLi4EEEEEEENSM_IJS12_S1O_S1P_NSC_IJLi5ELi6EEEENSC_IJLi7ELi8EEEEEEENSC_IJLi5ELi6ELi7ELi8EEEElEELb1ELNS_25InMemoryDataOperationEnumE0ELNS_10TailNumberE1EEEvPKS5_PKS6_PDF16_PvS24_RKNSJ_7ProblemERKT_RKT0_RKT1_i.a_block_slice_copy_step,@object ; @__const._ZN2ck41GridwiseGemm_xdl_cshuffle_v3_b_preshuffleINS_13tensor_layout4gemm8RowMajorENS2_11ColumnMajorES3_NS_9f8_fnuz_tENS_7pk_i4_tEfDF16_DF16_NS_16tensor_operation12element_wise11PassThroughES9_S9_LNS7_6device18GemmSpecializationE0ELi256ELi256ELi256ELi128ELi16ELi32ELi16ELi16ELi8ELi4ENS_8SequenceIJLi8ELi32ELi1EEEENSC_IJLi1ELi0ELi2EEEESE_Li2ELi16ELi16ELb0ELi0ENSC_IJLi4ELi64ELi1EEEESE_SE_Li2ELi32ELi32ELb0ELi0ELi1ELi1ENSC_IJLi1ELi32ELi1ELi8EEEELi4ELNS_26BlockGemmPipelineSchedulerE0ELNS_24BlockGemmPipelineVersionE2ES5_S5_Lb0ELb0ELi0EE8Run_2LdsIKNS_16TensorDescriptorINS_5TupleIJNS_5EmbedINSM_IJiiEEENSM_IJiNS_17integral_constantIiLi1EEEEEELb0EEENS_7UnMergeISO_Lb0EEENS_11PassThroughIiEEEEENSM_IJNSC_IJLi0EEEENSC_IJLi2EEEENSC_IJLi1EEEEEEENSM_IJNSC_IJLi1ELi2EEEENSC_IJLi3ELi4EEEENSC_IJLi5EEEEEEENSC_IJLi3ELi5ELi4EEEElEEKNSL_INSM_IJNSN_INSM_IJiiiiEEENSM_IJiiiSQ_EEELb0EEEEEENSM_IJSY_EEENSM_IJNSC_IJLi1ELi2ELi3ELi4EEEEEEES1E_lEEKNSL_INSM_IJSS_NS_8RightPadIiiLb0EEES1J_NST_INSM_IJiNSP_IiLi256EEEEEELb0EEES1M_EEENSM_IJSY_S10_SZ_NSC_IJLi3EEEENSC_IJLi4EEEEEEENSM_IJS12_S1O_S1P_NSC_IJLi5ELi6EEEENSC_IJLi7ELi8EEEEEEENSC_IJLi5ELi6ELi7ELi8EEEElEELb1ELNS_25InMemoryDataOperationEnumE0ELNS_10TailNumberE1EEEvPKS5_PKS6_PDF16_PvS24_RKNSJ_7ProblemERKT_RKT0_RKT1_i.a_block_slice_copy_step
	.section	.rodata,"a",@progbits
	.p2align	2, 0x0
__const._ZN2ck41GridwiseGemm_xdl_cshuffle_v3_b_preshuffleINS_13tensor_layout4gemm8RowMajorENS2_11ColumnMajorES3_NS_9f8_fnuz_tENS_7pk_i4_tEfDF16_DF16_NS_16tensor_operation12element_wise11PassThroughES9_S9_LNS7_6device18GemmSpecializationE0ELi256ELi256ELi256ELi128ELi16ELi32ELi16ELi16ELi8ELi4ENS_8SequenceIJLi8ELi32ELi1EEEENSC_IJLi1ELi0ELi2EEEESE_Li2ELi16ELi16ELb0ELi0ENSC_IJLi4ELi64ELi1EEEESE_SE_Li2ELi32ELi32ELb0ELi0ELi1ELi1ENSC_IJLi1ELi32ELi1ELi8EEEELi4ELNS_26BlockGemmPipelineSchedulerE0ELNS_24BlockGemmPipelineVersionE2ES5_S5_Lb0ELb0ELi0EE8Run_2LdsIKNS_16TensorDescriptorINS_5TupleIJNS_5EmbedINSM_IJiiEEENSM_IJiNS_17integral_constantIiLi1EEEEEELb0EEENS_7UnMergeISO_Lb0EEENS_11PassThroughIiEEEEENSM_IJNSC_IJLi0EEEENSC_IJLi2EEEENSC_IJLi1EEEEEEENSM_IJNSC_IJLi1ELi2EEEENSC_IJLi3ELi4EEEENSC_IJLi5EEEEEEENSC_IJLi3ELi5ELi4EEEElEEKNSL_INSM_IJNSN_INSM_IJiiiiEEENSM_IJiiiSQ_EEELb0EEEEEENSM_IJSY_EEENSM_IJNSC_IJLi1ELi2ELi3ELi4EEEEEEES1E_lEEKNSL_INSM_IJSS_NS_8RightPadIiiLb0EEES1J_NST_INSM_IJiNSP_IiLi256EEEEEELb0EEES1M_EEENSM_IJSY_S10_SZ_NSC_IJLi3EEEENSC_IJLi4EEEEEEENSM_IJS12_S1O_S1P_NSC_IJLi5ELi6EEEENSC_IJLi7ELi8EEEEEEENSC_IJLi5ELi6ELi7ELi8EEEElEELb1ELNS_25InMemoryDataOperationEnumE0ELNS_10TailNumberE1EEEvPKS5_PKS6_PDF16_PvS24_RKNSJ_7ProblemERKT_RKT0_RKT1_i.a_block_slice_copy_step:
	.long	8                               ; 0x8
	.long	0                               ; 0x0
	;; [unrolled: 1-line block ×3, first 2 shown]
	.size	__const._ZN2ck41GridwiseGemm_xdl_cshuffle_v3_b_preshuffleINS_13tensor_layout4gemm8RowMajorENS2_11ColumnMajorES3_NS_9f8_fnuz_tENS_7pk_i4_tEfDF16_DF16_NS_16tensor_operation12element_wise11PassThroughES9_S9_LNS7_6device18GemmSpecializationE0ELi256ELi256ELi256ELi128ELi16ELi32ELi16ELi16ELi8ELi4ENS_8SequenceIJLi8ELi32ELi1EEEENSC_IJLi1ELi0ELi2EEEESE_Li2ELi16ELi16ELb0ELi0ENSC_IJLi4ELi64ELi1EEEESE_SE_Li2ELi32ELi32ELb0ELi0ELi1ELi1ENSC_IJLi1ELi32ELi1ELi8EEEELi4ELNS_26BlockGemmPipelineSchedulerE0ELNS_24BlockGemmPipelineVersionE2ES5_S5_Lb0ELb0ELi0EE8Run_2LdsIKNS_16TensorDescriptorINS_5TupleIJNS_5EmbedINSM_IJiiEEENSM_IJiNS_17integral_constantIiLi1EEEEEELb0EEENS_7UnMergeISO_Lb0EEENS_11PassThroughIiEEEEENSM_IJNSC_IJLi0EEEENSC_IJLi2EEEENSC_IJLi1EEEEEEENSM_IJNSC_IJLi1ELi2EEEENSC_IJLi3ELi4EEEENSC_IJLi5EEEEEEENSC_IJLi3ELi5ELi4EEEElEEKNSL_INSM_IJNSN_INSM_IJiiiiEEENSM_IJiiiSQ_EEELb0EEEEEENSM_IJSY_EEENSM_IJNSC_IJLi1ELi2ELi3ELi4EEEEEEES1E_lEEKNSL_INSM_IJSS_NS_8RightPadIiiLb0EEES1J_NST_INSM_IJiNSP_IiLi256EEEEEELb0EEES1M_EEENSM_IJSY_S10_SZ_NSC_IJLi3EEEENSC_IJLi4EEEEEEENSM_IJS12_S1O_S1P_NSC_IJLi5ELi6EEEENSC_IJLi7ELi8EEEEEEENSC_IJLi5ELi6ELi7ELi8EEEElEELb1ELNS_25InMemoryDataOperationEnumE0ELNS_10TailNumberE1EEEvPKS5_PKS6_PDF16_PvS24_RKNSJ_7ProblemERKT_RKT0_RKT1_i.a_block_slice_copy_step, 12

	.type	__const._ZN2ck41GridwiseGemm_xdl_cshuffle_v3_b_preshuffleINS_13tensor_layout4gemm8RowMajorENS2_11ColumnMajorES3_NS_9f8_fnuz_tENS_7pk_i4_tEfDF16_DF16_NS_16tensor_operation12element_wise11PassThroughES9_S9_LNS7_6device18GemmSpecializationE0ELi256ELi256ELi256ELi128ELi16ELi32ELi16ELi16ELi8ELi4ENS_8SequenceIJLi8ELi32ELi1EEEENSC_IJLi1ELi0ELi2EEEESE_Li2ELi16ELi16ELb0ELi0ENSC_IJLi4ELi64ELi1EEEESE_SE_Li2ELi32ELi32ELb0ELi0ELi1ELi1ENSC_IJLi1ELi32ELi1ELi8EEEELi4ELNS_26BlockGemmPipelineSchedulerE0ELNS_24BlockGemmPipelineVersionE2ES5_S5_Lb0ELb0ELi0EE8Run_2LdsIKNS_16TensorDescriptorINS_5TupleIJNS_5EmbedINSM_IJiiEEENSM_IJiNS_17integral_constantIiLi1EEEEEELb0EEENS_7UnMergeISO_Lb0EEENS_11PassThroughIiEEEEENSM_IJNSC_IJLi0EEEENSC_IJLi2EEEENSC_IJLi1EEEEEEENSM_IJNSC_IJLi1ELi2EEEENSC_IJLi3ELi4EEEENSC_IJLi5EEEEEEENSC_IJLi3ELi5ELi4EEEElEEKNSL_INSM_IJNSN_INSM_IJiiiiEEENSM_IJiiiSQ_EEELb0EEEEEENSM_IJSY_EEENSM_IJNSC_IJLi1ELi2ELi3ELi4EEEEEEES1E_lEEKNSL_INSM_IJSS_NS_8RightPadIiiLb0EEES1J_NST_INSM_IJiNSP_IiLi256EEEEEELb0EEES1M_EEENSM_IJSY_S10_SZ_NSC_IJLi3EEEENSC_IJLi4EEEEEEENSM_IJS12_S1O_S1P_NSC_IJLi5ELi6EEEENSC_IJLi7ELi8EEEEEEENSC_IJLi5ELi6ELi7ELi8EEEElEELb1ELNS_25InMemoryDataOperationEnumE0ELNS_10TailNumberE1EEEvPKS5_PKS6_PDF16_PvS24_RKNSJ_7ProblemERKT_RKT0_RKT1_i.b_block_slice_copy_step,@object ; @__const._ZN2ck41GridwiseGemm_xdl_cshuffle_v3_b_preshuffleINS_13tensor_layout4gemm8RowMajorENS2_11ColumnMajorES3_NS_9f8_fnuz_tENS_7pk_i4_tEfDF16_DF16_NS_16tensor_operation12element_wise11PassThroughES9_S9_LNS7_6device18GemmSpecializationE0ELi256ELi256ELi256ELi128ELi16ELi32ELi16ELi16ELi8ELi4ENS_8SequenceIJLi8ELi32ELi1EEEENSC_IJLi1ELi0ELi2EEEESE_Li2ELi16ELi16ELb0ELi0ENSC_IJLi4ELi64ELi1EEEESE_SE_Li2ELi32ELi32ELb0ELi0ELi1ELi1ENSC_IJLi1ELi32ELi1ELi8EEEELi4ELNS_26BlockGemmPipelineSchedulerE0ELNS_24BlockGemmPipelineVersionE2ES5_S5_Lb0ELb0ELi0EE8Run_2LdsIKNS_16TensorDescriptorINS_5TupleIJNS_5EmbedINSM_IJiiEEENSM_IJiNS_17integral_constantIiLi1EEEEEELb0EEENS_7UnMergeISO_Lb0EEENS_11PassThroughIiEEEEENSM_IJNSC_IJLi0EEEENSC_IJLi2EEEENSC_IJLi1EEEEEEENSM_IJNSC_IJLi1ELi2EEEENSC_IJLi3ELi4EEEENSC_IJLi5EEEEEEENSC_IJLi3ELi5ELi4EEEElEEKNSL_INSM_IJNSN_INSM_IJiiiiEEENSM_IJiiiSQ_EEELb0EEEEEENSM_IJSY_EEENSM_IJNSC_IJLi1ELi2ELi3ELi4EEEEEEES1E_lEEKNSL_INSM_IJSS_NS_8RightPadIiiLb0EEES1J_NST_INSM_IJiNSP_IiLi256EEEEEELb0EEES1M_EEENSM_IJSY_S10_SZ_NSC_IJLi3EEEENSC_IJLi4EEEEEEENSM_IJS12_S1O_S1P_NSC_IJLi5ELi6EEEENSC_IJLi7ELi8EEEEEEENSC_IJLi5ELi6ELi7ELi8EEEElEELb1ELNS_25InMemoryDataOperationEnumE0ELNS_10TailNumberE1EEEvPKS5_PKS6_PDF16_PvS24_RKNSJ_7ProblemERKT_RKT0_RKT1_i.b_block_slice_copy_step
	.section	.rodata.cst16,"aM",@progbits,16
	.p2align	2, 0x0
__const._ZN2ck41GridwiseGemm_xdl_cshuffle_v3_b_preshuffleINS_13tensor_layout4gemm8RowMajorENS2_11ColumnMajorES3_NS_9f8_fnuz_tENS_7pk_i4_tEfDF16_DF16_NS_16tensor_operation12element_wise11PassThroughES9_S9_LNS7_6device18GemmSpecializationE0ELi256ELi256ELi256ELi128ELi16ELi32ELi16ELi16ELi8ELi4ENS_8SequenceIJLi8ELi32ELi1EEEENSC_IJLi1ELi0ELi2EEEESE_Li2ELi16ELi16ELb0ELi0ENSC_IJLi4ELi64ELi1EEEESE_SE_Li2ELi32ELi32ELb0ELi0ELi1ELi1ENSC_IJLi1ELi32ELi1ELi8EEEELi4ELNS_26BlockGemmPipelineSchedulerE0ELNS_24BlockGemmPipelineVersionE2ES5_S5_Lb0ELb0ELi0EE8Run_2LdsIKNS_16TensorDescriptorINS_5TupleIJNS_5EmbedINSM_IJiiEEENSM_IJiNS_17integral_constantIiLi1EEEEEELb0EEENS_7UnMergeISO_Lb0EEENS_11PassThroughIiEEEEENSM_IJNSC_IJLi0EEEENSC_IJLi2EEEENSC_IJLi1EEEEEEENSM_IJNSC_IJLi1ELi2EEEENSC_IJLi3ELi4EEEENSC_IJLi5EEEEEEENSC_IJLi3ELi5ELi4EEEElEEKNSL_INSM_IJNSN_INSM_IJiiiiEEENSM_IJiiiSQ_EEELb0EEEEEENSM_IJSY_EEENSM_IJNSC_IJLi1ELi2ELi3ELi4EEEEEEES1E_lEEKNSL_INSM_IJSS_NS_8RightPadIiiLb0EEES1J_NST_INSM_IJiNSP_IiLi256EEEEEELb0EEES1M_EEENSM_IJSY_S10_SZ_NSC_IJLi3EEEENSC_IJLi4EEEEEEENSM_IJS12_S1O_S1P_NSC_IJLi5ELi6EEEENSC_IJLi7ELi8EEEEEEENSC_IJLi5ELi6ELi7ELi8EEEElEELb1ELNS_25InMemoryDataOperationEnumE0ELNS_10TailNumberE1EEEvPKS5_PKS6_PDF16_PvS24_RKNSJ_7ProblemERKT_RKT0_RKT1_i.b_block_slice_copy_step:
	.long	0                               ; 0x0
	.long	0                               ; 0x0
	;; [unrolled: 1-line block ×4, first 2 shown]
	.size	__const._ZN2ck41GridwiseGemm_xdl_cshuffle_v3_b_preshuffleINS_13tensor_layout4gemm8RowMajorENS2_11ColumnMajorES3_NS_9f8_fnuz_tENS_7pk_i4_tEfDF16_DF16_NS_16tensor_operation12element_wise11PassThroughES9_S9_LNS7_6device18GemmSpecializationE0ELi256ELi256ELi256ELi128ELi16ELi32ELi16ELi16ELi8ELi4ENS_8SequenceIJLi8ELi32ELi1EEEENSC_IJLi1ELi0ELi2EEEESE_Li2ELi16ELi16ELb0ELi0ENSC_IJLi4ELi64ELi1EEEESE_SE_Li2ELi32ELi32ELb0ELi0ELi1ELi1ENSC_IJLi1ELi32ELi1ELi8EEEELi4ELNS_26BlockGemmPipelineSchedulerE0ELNS_24BlockGemmPipelineVersionE2ES5_S5_Lb0ELb0ELi0EE8Run_2LdsIKNS_16TensorDescriptorINS_5TupleIJNS_5EmbedINSM_IJiiEEENSM_IJiNS_17integral_constantIiLi1EEEEEELb0EEENS_7UnMergeISO_Lb0EEENS_11PassThroughIiEEEEENSM_IJNSC_IJLi0EEEENSC_IJLi2EEEENSC_IJLi1EEEEEEENSM_IJNSC_IJLi1ELi2EEEENSC_IJLi3ELi4EEEENSC_IJLi5EEEEEEENSC_IJLi3ELi5ELi4EEEElEEKNSL_INSM_IJNSN_INSM_IJiiiiEEENSM_IJiiiSQ_EEELb0EEEEEENSM_IJSY_EEENSM_IJNSC_IJLi1ELi2ELi3ELi4EEEEEEES1E_lEEKNSL_INSM_IJSS_NS_8RightPadIiiLb0EEES1J_NST_INSM_IJiNSP_IiLi256EEEEEELb0EEES1M_EEENSM_IJSY_S10_SZ_NSC_IJLi3EEEENSC_IJLi4EEEEEEENSM_IJS12_S1O_S1P_NSC_IJLi5ELi6EEEENSC_IJLi7ELi8EEEEEEENSC_IJLi5ELi6ELi7ELi8EEEElEELb1ELNS_25InMemoryDataOperationEnumE0ELNS_10TailNumberE1EEEvPKS5_PKS6_PDF16_PvS24_RKNSJ_7ProblemERKT_RKT0_RKT1_i.b_block_slice_copy_step, 16

	.type	__hip_cuid_763ae9af2f74a751,@object ; @__hip_cuid_763ae9af2f74a751
	.section	.bss,"aw",@nobits
	.globl	__hip_cuid_763ae9af2f74a751
__hip_cuid_763ae9af2f74a751:
	.byte	0                               ; 0x0
	.size	__hip_cuid_763ae9af2f74a751, 1

	.ident	"AMD clang version 22.0.0git (https://github.com/RadeonOpenCompute/llvm-project roc-7.2.4 26084 f58b06dce1f9c15707c5f808fd002e18c2accf7e)"
	.section	".note.GNU-stack","",@progbits
	.addrsig
	.addrsig_sym __hip_cuid_763ae9af2f74a751
	.amdgpu_metadata
---
amdhsa.kernels:
  - .args:           []
    .group_segment_fixed_size: 0
    .kernarg_segment_align: 4
    .kernarg_segment_size: 0
    .language:       OpenCL C
    .language_version:
      - 2
      - 0
    .max_flat_workgroup_size: 1024
    .name:           _ZN2ckL12flush_icacheEv
    .private_segment_fixed_size: 0
    .sgpr_count:     0
    .sgpr_spill_count: 0
    .symbol:         _ZN2ckL12flush_icacheEv.kd
    .uniform_work_group_size: 1
    .uses_dynamic_stack: false
    .vgpr_count:     0
    .vgpr_spill_count: 0
    .wavefront_size: 32
    .workgroup_processor_mode: 1
  - .args:
      - .offset:         0
        .size:           112
        .value_kind:     by_value
    .group_segment_fixed_size: 0
    .kernarg_segment_align: 8
    .kernarg_segment_size: 112
    .language:       OpenCL C
    .language_version:
      - 2
      - 0
    .max_flat_workgroup_size: 256
    .name:           _ZN2ck45kernel_gemm_xdl_cshuffle_v3_b_preshuffle_2ldsINS_41GridwiseGemm_xdl_cshuffle_v3_b_preshuffleINS_13tensor_layout4gemm8RowMajorENS3_11ColumnMajorES4_NS_9f8_fnuz_tENS_7pk_i4_tEfDF16_DF16_NS_16tensor_operation12element_wise11PassThroughESA_SA_LNS8_6device18GemmSpecializationE0ELi256ELi256ELi256ELi128ELi16ELi32ELi16ELi16ELi8ELi8ENS_8SequenceIJLi8ELi32ELi1EEEENSD_IJLi1ELi0ELi2EEEESF_Li2ELi16ELi16ELb0ELi0ENSD_IJLi4ELi64ELi1EEEESF_SF_Li2ELi32ELi32ELb0ELi0ELi1ELi1ENSD_IJLi1ELi32ELi1ELi8EEEELi4ELNS_26BlockGemmPipelineSchedulerE0ELNS_24BlockGemmPipelineVersionE2ES6_S6_Lb0ELb0ELi0EEELb1ELNS_25InMemoryDataOperationEnumE1ELi1ELNS_10TailNumberE0EEEvNT_8ArgumentE
    .private_segment_fixed_size: 0
    .sgpr_count:     0
    .sgpr_spill_count: 0
    .symbol:         _ZN2ck45kernel_gemm_xdl_cshuffle_v3_b_preshuffle_2ldsINS_41GridwiseGemm_xdl_cshuffle_v3_b_preshuffleINS_13tensor_layout4gemm8RowMajorENS3_11ColumnMajorES4_NS_9f8_fnuz_tENS_7pk_i4_tEfDF16_DF16_NS_16tensor_operation12element_wise11PassThroughESA_SA_LNS8_6device18GemmSpecializationE0ELi256ELi256ELi256ELi128ELi16ELi32ELi16ELi16ELi8ELi8ENS_8SequenceIJLi8ELi32ELi1EEEENSD_IJLi1ELi0ELi2EEEESF_Li2ELi16ELi16ELb0ELi0ENSD_IJLi4ELi64ELi1EEEESF_SF_Li2ELi32ELi32ELb0ELi0ELi1ELi1ENSD_IJLi1ELi32ELi1ELi8EEEELi4ELNS_26BlockGemmPipelineSchedulerE0ELNS_24BlockGemmPipelineVersionE2ES6_S6_Lb0ELb0ELi0EEELb1ELNS_25InMemoryDataOperationEnumE1ELi1ELNS_10TailNumberE0EEEvNT_8ArgumentE.kd
    .uniform_work_group_size: 1
    .uses_dynamic_stack: false
    .vgpr_count:     0
    .vgpr_spill_count: 0
    .wavefront_size: 32
    .workgroup_processor_mode: 1
  - .args:
      - .offset:         0
        .size:           112
        .value_kind:     by_value
    .group_segment_fixed_size: 0
    .kernarg_segment_align: 8
    .kernarg_segment_size: 112
    .language:       OpenCL C
    .language_version:
      - 2
      - 0
    .max_flat_workgroup_size: 256
    .name:           _ZN2ck45kernel_gemm_xdl_cshuffle_v3_b_preshuffle_2ldsINS_41GridwiseGemm_xdl_cshuffle_v3_b_preshuffleINS_13tensor_layout4gemm8RowMajorENS3_11ColumnMajorES4_NS_9f8_fnuz_tENS_7pk_i4_tEfDF16_DF16_NS_16tensor_operation12element_wise11PassThroughESA_SA_LNS8_6device18GemmSpecializationE0ELi256ELi256ELi256ELi128ELi16ELi32ELi16ELi16ELi8ELi8ENS_8SequenceIJLi8ELi32ELi1EEEENSD_IJLi1ELi0ELi2EEEESF_Li2ELi16ELi16ELb0ELi0ENSD_IJLi4ELi64ELi1EEEESF_SF_Li2ELi32ELi32ELb0ELi0ELi1ELi1ENSD_IJLi1ELi32ELi1ELi8EEEELi4ELNS_26BlockGemmPipelineSchedulerE0ELNS_24BlockGemmPipelineVersionE2ES6_S6_Lb0ELb0ELi0EEELb1ELNS_25InMemoryDataOperationEnumE1ELi1ELNS_10TailNumberE1EEEvNT_8ArgumentE
    .private_segment_fixed_size: 0
    .sgpr_count:     0
    .sgpr_spill_count: 0
    .symbol:         _ZN2ck45kernel_gemm_xdl_cshuffle_v3_b_preshuffle_2ldsINS_41GridwiseGemm_xdl_cshuffle_v3_b_preshuffleINS_13tensor_layout4gemm8RowMajorENS3_11ColumnMajorES4_NS_9f8_fnuz_tENS_7pk_i4_tEfDF16_DF16_NS_16tensor_operation12element_wise11PassThroughESA_SA_LNS8_6device18GemmSpecializationE0ELi256ELi256ELi256ELi128ELi16ELi32ELi16ELi16ELi8ELi8ENS_8SequenceIJLi8ELi32ELi1EEEENSD_IJLi1ELi0ELi2EEEESF_Li2ELi16ELi16ELb0ELi0ENSD_IJLi4ELi64ELi1EEEESF_SF_Li2ELi32ELi32ELb0ELi0ELi1ELi1ENSD_IJLi1ELi32ELi1ELi8EEEELi4ELNS_26BlockGemmPipelineSchedulerE0ELNS_24BlockGemmPipelineVersionE2ES6_S6_Lb0ELb0ELi0EEELb1ELNS_25InMemoryDataOperationEnumE1ELi1ELNS_10TailNumberE1EEEvNT_8ArgumentE.kd
    .uniform_work_group_size: 1
    .uses_dynamic_stack: false
    .vgpr_count:     0
    .vgpr_spill_count: 0
    .wavefront_size: 32
    .workgroup_processor_mode: 1
  - .args:
      - .offset:         0
        .size:           112
        .value_kind:     by_value
    .group_segment_fixed_size: 0
    .kernarg_segment_align: 8
    .kernarg_segment_size: 112
    .language:       OpenCL C
    .language_version:
      - 2
      - 0
    .max_flat_workgroup_size: 256
    .name:           _ZN2ck45kernel_gemm_xdl_cshuffle_v3_b_preshuffle_2ldsINS_41GridwiseGemm_xdl_cshuffle_v3_b_preshuffleINS_13tensor_layout4gemm8RowMajorENS3_11ColumnMajorES4_NS_9f8_fnuz_tENS_7pk_i4_tEfDF16_DF16_NS_16tensor_operation12element_wise11PassThroughESA_SA_LNS8_6device18GemmSpecializationE0ELi256ELi256ELi256ELi128ELi16ELi32ELi16ELi16ELi8ELi8ENS_8SequenceIJLi8ELi32ELi1EEEENSD_IJLi1ELi0ELi2EEEESF_Li2ELi16ELi16ELb0ELi0ENSD_IJLi4ELi64ELi1EEEESF_SF_Li2ELi32ELi32ELb0ELi0ELi1ELi1ENSD_IJLi1ELi32ELi1ELi8EEEELi4ELNS_26BlockGemmPipelineSchedulerE0ELNS_24BlockGemmPipelineVersionE2ES6_S6_Lb0ELb0ELi0EEELb1ELNS_25InMemoryDataOperationEnumE0ELi1ELNS_10TailNumberE0EEEvNT_8ArgumentE
    .private_segment_fixed_size: 0
    .sgpr_count:     0
    .sgpr_spill_count: 0
    .symbol:         _ZN2ck45kernel_gemm_xdl_cshuffle_v3_b_preshuffle_2ldsINS_41GridwiseGemm_xdl_cshuffle_v3_b_preshuffleINS_13tensor_layout4gemm8RowMajorENS3_11ColumnMajorES4_NS_9f8_fnuz_tENS_7pk_i4_tEfDF16_DF16_NS_16tensor_operation12element_wise11PassThroughESA_SA_LNS8_6device18GemmSpecializationE0ELi256ELi256ELi256ELi128ELi16ELi32ELi16ELi16ELi8ELi8ENS_8SequenceIJLi8ELi32ELi1EEEENSD_IJLi1ELi0ELi2EEEESF_Li2ELi16ELi16ELb0ELi0ENSD_IJLi4ELi64ELi1EEEESF_SF_Li2ELi32ELi32ELb0ELi0ELi1ELi1ENSD_IJLi1ELi32ELi1ELi8EEEELi4ELNS_26BlockGemmPipelineSchedulerE0ELNS_24BlockGemmPipelineVersionE2ES6_S6_Lb0ELb0ELi0EEELb1ELNS_25InMemoryDataOperationEnumE0ELi1ELNS_10TailNumberE0EEEvNT_8ArgumentE.kd
    .uniform_work_group_size: 1
    .uses_dynamic_stack: false
    .vgpr_count:     0
    .vgpr_spill_count: 0
    .wavefront_size: 32
    .workgroup_processor_mode: 1
  - .args:
      - .offset:         0
        .size:           112
        .value_kind:     by_value
    .group_segment_fixed_size: 0
    .kernarg_segment_align: 8
    .kernarg_segment_size: 112
    .language:       OpenCL C
    .language_version:
      - 2
      - 0
    .max_flat_workgroup_size: 256
    .name:           _ZN2ck45kernel_gemm_xdl_cshuffle_v3_b_preshuffle_2ldsINS_41GridwiseGemm_xdl_cshuffle_v3_b_preshuffleINS_13tensor_layout4gemm8RowMajorENS3_11ColumnMajorES4_NS_9f8_fnuz_tENS_7pk_i4_tEfDF16_DF16_NS_16tensor_operation12element_wise11PassThroughESA_SA_LNS8_6device18GemmSpecializationE0ELi256ELi256ELi256ELi128ELi16ELi32ELi16ELi16ELi8ELi8ENS_8SequenceIJLi8ELi32ELi1EEEENSD_IJLi1ELi0ELi2EEEESF_Li2ELi16ELi16ELb0ELi0ENSD_IJLi4ELi64ELi1EEEESF_SF_Li2ELi32ELi32ELb0ELi0ELi1ELi1ENSD_IJLi1ELi32ELi1ELi8EEEELi4ELNS_26BlockGemmPipelineSchedulerE0ELNS_24BlockGemmPipelineVersionE2ES6_S6_Lb0ELb0ELi0EEELb1ELNS_25InMemoryDataOperationEnumE0ELi1ELNS_10TailNumberE1EEEvNT_8ArgumentE
    .private_segment_fixed_size: 0
    .sgpr_count:     0
    .sgpr_spill_count: 0
    .symbol:         _ZN2ck45kernel_gemm_xdl_cshuffle_v3_b_preshuffle_2ldsINS_41GridwiseGemm_xdl_cshuffle_v3_b_preshuffleINS_13tensor_layout4gemm8RowMajorENS3_11ColumnMajorES4_NS_9f8_fnuz_tENS_7pk_i4_tEfDF16_DF16_NS_16tensor_operation12element_wise11PassThroughESA_SA_LNS8_6device18GemmSpecializationE0ELi256ELi256ELi256ELi128ELi16ELi32ELi16ELi16ELi8ELi8ENS_8SequenceIJLi8ELi32ELi1EEEENSD_IJLi1ELi0ELi2EEEESF_Li2ELi16ELi16ELb0ELi0ENSD_IJLi4ELi64ELi1EEEESF_SF_Li2ELi32ELi32ELb0ELi0ELi1ELi1ENSD_IJLi1ELi32ELi1ELi8EEEELi4ELNS_26BlockGemmPipelineSchedulerE0ELNS_24BlockGemmPipelineVersionE2ES6_S6_Lb0ELb0ELi0EEELb1ELNS_25InMemoryDataOperationEnumE0ELi1ELNS_10TailNumberE1EEEvNT_8ArgumentE.kd
    .uniform_work_group_size: 1
    .uses_dynamic_stack: false
    .vgpr_count:     0
    .vgpr_spill_count: 0
    .wavefront_size: 32
    .workgroup_processor_mode: 1
  - .args:
      - .offset:         0
        .size:           112
        .value_kind:     by_value
    .group_segment_fixed_size: 65536
    .kernarg_segment_align: 8
    .kernarg_segment_size: 112
    .language:       OpenCL C
    .language_version:
      - 2
      - 0
    .max_flat_workgroup_size: 256
    .name:           _ZN2ck45kernel_gemm_xdl_cshuffle_v3_b_preshuffle_2ldsINS_41GridwiseGemm_xdl_cshuffle_v3_b_preshuffleINS_13tensor_layout4gemm8RowMajorENS3_11ColumnMajorES4_NS_9f8_fnuz_tENS_7pk_i4_tEfDF16_DF16_NS_16tensor_operation12element_wise11PassThroughESA_SA_LNS8_6device18GemmSpecializationE0ELi256ELi256ELi256ELi128ELi16ELi32ELi16ELi16ELi8ELi4ENS_8SequenceIJLi8ELi32ELi1EEEENSD_IJLi1ELi0ELi2EEEESF_Li2ELi16ELi16ELb0ELi0ENSD_IJLi4ELi64ELi1EEEESF_SF_Li2ELi32ELi32ELb0ELi0ELi1ELi1ENSD_IJLi1ELi32ELi1ELi8EEEELi4ELNS_26BlockGemmPipelineSchedulerE0ELNS_24BlockGemmPipelineVersionE2ES6_S6_Lb0ELb0ELi0EEELb1ELNS_25InMemoryDataOperationEnumE1ELi1ELNS_10TailNumberE0EEEvNT_8ArgumentE
    .private_segment_fixed_size: 4400
    .sgpr_count:     36
    .sgpr_spill_count: 0
    .symbol:         _ZN2ck45kernel_gemm_xdl_cshuffle_v3_b_preshuffle_2ldsINS_41GridwiseGemm_xdl_cshuffle_v3_b_preshuffleINS_13tensor_layout4gemm8RowMajorENS3_11ColumnMajorES4_NS_9f8_fnuz_tENS_7pk_i4_tEfDF16_DF16_NS_16tensor_operation12element_wise11PassThroughESA_SA_LNS8_6device18GemmSpecializationE0ELi256ELi256ELi256ELi128ELi16ELi32ELi16ELi16ELi8ELi4ENS_8SequenceIJLi8ELi32ELi1EEEENSD_IJLi1ELi0ELi2EEEESF_Li2ELi16ELi16ELb0ELi0ENSD_IJLi4ELi64ELi1EEEESF_SF_Li2ELi32ELi32ELb0ELi0ELi1ELi1ENSD_IJLi1ELi32ELi1ELi8EEEELi4ELNS_26BlockGemmPipelineSchedulerE0ELNS_24BlockGemmPipelineVersionE2ES6_S6_Lb0ELb0ELi0EEELb1ELNS_25InMemoryDataOperationEnumE1ELi1ELNS_10TailNumberE0EEEvNT_8ArgumentE.kd
    .uniform_work_group_size: 1
    .uses_dynamic_stack: false
    .vgpr_count:     152
    .vgpr_spill_count: 0
    .wavefront_size: 32
    .workgroup_processor_mode: 1
  - .args:
      - .offset:         0
        .size:           112
        .value_kind:     by_value
    .group_segment_fixed_size: 65536
    .kernarg_segment_align: 8
    .kernarg_segment_size: 112
    .language:       OpenCL C
    .language_version:
      - 2
      - 0
    .max_flat_workgroup_size: 256
    .name:           _ZN2ck45kernel_gemm_xdl_cshuffle_v3_b_preshuffle_2ldsINS_41GridwiseGemm_xdl_cshuffle_v3_b_preshuffleINS_13tensor_layout4gemm8RowMajorENS3_11ColumnMajorES4_NS_9f8_fnuz_tENS_7pk_i4_tEfDF16_DF16_NS_16tensor_operation12element_wise11PassThroughESA_SA_LNS8_6device18GemmSpecializationE0ELi256ELi256ELi256ELi128ELi16ELi32ELi16ELi16ELi8ELi4ENS_8SequenceIJLi8ELi32ELi1EEEENSD_IJLi1ELi0ELi2EEEESF_Li2ELi16ELi16ELb0ELi0ENSD_IJLi4ELi64ELi1EEEESF_SF_Li2ELi32ELi32ELb0ELi0ELi1ELi1ENSD_IJLi1ELi32ELi1ELi8EEEELi4ELNS_26BlockGemmPipelineSchedulerE0ELNS_24BlockGemmPipelineVersionE2ES6_S6_Lb0ELb0ELi0EEELb1ELNS_25InMemoryDataOperationEnumE1ELi1ELNS_10TailNumberE1EEEvNT_8ArgumentE
    .private_segment_fixed_size: 4400
    .sgpr_count:     36
    .sgpr_spill_count: 0
    .symbol:         _ZN2ck45kernel_gemm_xdl_cshuffle_v3_b_preshuffle_2ldsINS_41GridwiseGemm_xdl_cshuffle_v3_b_preshuffleINS_13tensor_layout4gemm8RowMajorENS3_11ColumnMajorES4_NS_9f8_fnuz_tENS_7pk_i4_tEfDF16_DF16_NS_16tensor_operation12element_wise11PassThroughESA_SA_LNS8_6device18GemmSpecializationE0ELi256ELi256ELi256ELi128ELi16ELi32ELi16ELi16ELi8ELi4ENS_8SequenceIJLi8ELi32ELi1EEEENSD_IJLi1ELi0ELi2EEEESF_Li2ELi16ELi16ELb0ELi0ENSD_IJLi4ELi64ELi1EEEESF_SF_Li2ELi32ELi32ELb0ELi0ELi1ELi1ENSD_IJLi1ELi32ELi1ELi8EEEELi4ELNS_26BlockGemmPipelineSchedulerE0ELNS_24BlockGemmPipelineVersionE2ES6_S6_Lb0ELb0ELi0EEELb1ELNS_25InMemoryDataOperationEnumE1ELi1ELNS_10TailNumberE1EEEvNT_8ArgumentE.kd
    .uniform_work_group_size: 1
    .uses_dynamic_stack: false
    .vgpr_count:     152
    .vgpr_spill_count: 0
    .wavefront_size: 32
    .workgroup_processor_mode: 1
  - .args:
      - .offset:         0
        .size:           112
        .value_kind:     by_value
    .group_segment_fixed_size: 65536
    .kernarg_segment_align: 8
    .kernarg_segment_size: 112
    .language:       OpenCL C
    .language_version:
      - 2
      - 0
    .max_flat_workgroup_size: 256
    .name:           _ZN2ck45kernel_gemm_xdl_cshuffle_v3_b_preshuffle_2ldsINS_41GridwiseGemm_xdl_cshuffle_v3_b_preshuffleINS_13tensor_layout4gemm8RowMajorENS3_11ColumnMajorES4_NS_9f8_fnuz_tENS_7pk_i4_tEfDF16_DF16_NS_16tensor_operation12element_wise11PassThroughESA_SA_LNS8_6device18GemmSpecializationE0ELi256ELi256ELi256ELi128ELi16ELi32ELi16ELi16ELi8ELi4ENS_8SequenceIJLi8ELi32ELi1EEEENSD_IJLi1ELi0ELi2EEEESF_Li2ELi16ELi16ELb0ELi0ENSD_IJLi4ELi64ELi1EEEESF_SF_Li2ELi32ELi32ELb0ELi0ELi1ELi1ENSD_IJLi1ELi32ELi1ELi8EEEELi4ELNS_26BlockGemmPipelineSchedulerE0ELNS_24BlockGemmPipelineVersionE2ES6_S6_Lb0ELb0ELi0EEELb1ELNS_25InMemoryDataOperationEnumE0ELi1ELNS_10TailNumberE0EEEvNT_8ArgumentE
    .private_segment_fixed_size: 4400
    .sgpr_count:     36
    .sgpr_spill_count: 0
    .symbol:         _ZN2ck45kernel_gemm_xdl_cshuffle_v3_b_preshuffle_2ldsINS_41GridwiseGemm_xdl_cshuffle_v3_b_preshuffleINS_13tensor_layout4gemm8RowMajorENS3_11ColumnMajorES4_NS_9f8_fnuz_tENS_7pk_i4_tEfDF16_DF16_NS_16tensor_operation12element_wise11PassThroughESA_SA_LNS8_6device18GemmSpecializationE0ELi256ELi256ELi256ELi128ELi16ELi32ELi16ELi16ELi8ELi4ENS_8SequenceIJLi8ELi32ELi1EEEENSD_IJLi1ELi0ELi2EEEESF_Li2ELi16ELi16ELb0ELi0ENSD_IJLi4ELi64ELi1EEEESF_SF_Li2ELi32ELi32ELb0ELi0ELi1ELi1ENSD_IJLi1ELi32ELi1ELi8EEEELi4ELNS_26BlockGemmPipelineSchedulerE0ELNS_24BlockGemmPipelineVersionE2ES6_S6_Lb0ELb0ELi0EEELb1ELNS_25InMemoryDataOperationEnumE0ELi1ELNS_10TailNumberE0EEEvNT_8ArgumentE.kd
    .uniform_work_group_size: 1
    .uses_dynamic_stack: false
    .vgpr_count:     152
    .vgpr_spill_count: 0
    .wavefront_size: 32
    .workgroup_processor_mode: 1
  - .args:
      - .offset:         0
        .size:           112
        .value_kind:     by_value
    .group_segment_fixed_size: 65536
    .kernarg_segment_align: 8
    .kernarg_segment_size: 112
    .language:       OpenCL C
    .language_version:
      - 2
      - 0
    .max_flat_workgroup_size: 256
    .name:           _ZN2ck45kernel_gemm_xdl_cshuffle_v3_b_preshuffle_2ldsINS_41GridwiseGemm_xdl_cshuffle_v3_b_preshuffleINS_13tensor_layout4gemm8RowMajorENS3_11ColumnMajorES4_NS_9f8_fnuz_tENS_7pk_i4_tEfDF16_DF16_NS_16tensor_operation12element_wise11PassThroughESA_SA_LNS8_6device18GemmSpecializationE0ELi256ELi256ELi256ELi128ELi16ELi32ELi16ELi16ELi8ELi4ENS_8SequenceIJLi8ELi32ELi1EEEENSD_IJLi1ELi0ELi2EEEESF_Li2ELi16ELi16ELb0ELi0ENSD_IJLi4ELi64ELi1EEEESF_SF_Li2ELi32ELi32ELb0ELi0ELi1ELi1ENSD_IJLi1ELi32ELi1ELi8EEEELi4ELNS_26BlockGemmPipelineSchedulerE0ELNS_24BlockGemmPipelineVersionE2ES6_S6_Lb0ELb0ELi0EEELb1ELNS_25InMemoryDataOperationEnumE0ELi1ELNS_10TailNumberE1EEEvNT_8ArgumentE
    .private_segment_fixed_size: 4400
    .sgpr_count:     36
    .sgpr_spill_count: 0
    .symbol:         _ZN2ck45kernel_gemm_xdl_cshuffle_v3_b_preshuffle_2ldsINS_41GridwiseGemm_xdl_cshuffle_v3_b_preshuffleINS_13tensor_layout4gemm8RowMajorENS3_11ColumnMajorES4_NS_9f8_fnuz_tENS_7pk_i4_tEfDF16_DF16_NS_16tensor_operation12element_wise11PassThroughESA_SA_LNS8_6device18GemmSpecializationE0ELi256ELi256ELi256ELi128ELi16ELi32ELi16ELi16ELi8ELi4ENS_8SequenceIJLi8ELi32ELi1EEEENSD_IJLi1ELi0ELi2EEEESF_Li2ELi16ELi16ELb0ELi0ENSD_IJLi4ELi64ELi1EEEESF_SF_Li2ELi32ELi32ELb0ELi0ELi1ELi1ENSD_IJLi1ELi32ELi1ELi8EEEELi4ELNS_26BlockGemmPipelineSchedulerE0ELNS_24BlockGemmPipelineVersionE2ES6_S6_Lb0ELb0ELi0EEELb1ELNS_25InMemoryDataOperationEnumE0ELi1ELNS_10TailNumberE1EEEvNT_8ArgumentE.kd
    .uniform_work_group_size: 1
    .uses_dynamic_stack: false
    .vgpr_count:     152
    .vgpr_spill_count: 0
    .wavefront_size: 32
    .workgroup_processor_mode: 1
amdhsa.target:   amdgcn-amd-amdhsa--gfx1201
amdhsa.version:
  - 1
  - 2
...

	.end_amdgpu_metadata
